;; amdgpu-corpus repo=ROCm/rocFFT kind=compiled arch=gfx1201 opt=O3
	.text
	.amdgcn_target "amdgcn-amd-amdhsa--gfx1201"
	.amdhsa_code_object_version 6
	.protected	bluestein_single_back_len780_dim1_dp_op_CI_CI ; -- Begin function bluestein_single_back_len780_dim1_dp_op_CI_CI
	.globl	bluestein_single_back_len780_dim1_dp_op_CI_CI
	.p2align	8
	.type	bluestein_single_back_len780_dim1_dp_op_CI_CI,@function
bluestein_single_back_len780_dim1_dp_op_CI_CI: ; @bluestein_single_back_len780_dim1_dp_op_CI_CI
; %bb.0:
	s_load_b128 s[16:19], s[0:1], 0x28
	v_mul_u32_u24_e32 v1, 0x349, v0
	s_mov_b32 s2, exec_lo
	s_delay_alu instid0(VALU_DEP_1) | instskip(NEXT) | instid1(VALU_DEP_1)
	v_lshrrev_b32_e32 v1, 16, v1
	v_mad_co_u64_u32 v[184:185], null, ttmp9, 3, v[1:2]
	v_mov_b32_e32 v185, 0
                                        ; kill: def $vgpr2 killed $sgpr0 killed $exec
	s_wait_kmcnt 0x0
	s_delay_alu instid0(VALU_DEP_1)
	v_cmpx_gt_u64_e64 s[16:17], v[184:185]
	s_cbranch_execz .LBB0_18
; %bb.1:
	s_clause 0x1
	s_load_b128 s[4:7], s[0:1], 0x18
	s_load_b128 s[8:11], s[0:1], 0x0
	v_mul_lo_u16 v1, 0x4e, v1
	v_mul_hi_u32 v21, 0xaaaaaaab, v184
	s_delay_alu instid0(VALU_DEP_2) | instskip(NEXT) | instid1(VALU_DEP_2)
	v_sub_nc_u16 v0, v0, v1
	v_lshrrev_b32_e32 v21, 1, v21
	s_delay_alu instid0(VALU_DEP_2) | instskip(NEXT) | instid1(VALU_DEP_2)
	v_and_b32_e32 v22, 0xffff, v0
	v_lshl_add_u32 v21, v21, 1, v21
	s_delay_alu instid0(VALU_DEP_2) | instskip(SKIP_2) | instid1(VALU_DEP_2)
	v_lshlrev_b32_e32 v255, 4, v22
	s_wait_kmcnt 0x0
	s_load_b128 s[12:15], s[4:5], 0x0
	v_sub_nc_u32_e32 v21, v184, v21
	s_movk_i32 s4, 0xec80
	s_mov_b32 s5, -1
	s_clause 0x4
	global_load_b128 v[27:30], v255, s[8:9] offset:6240
	global_load_b128 v[96:99], v255, s[8:9]
	global_load_b128 v[100:103], v255, s[8:9] offset:1248
	global_load_b128 v[104:107], v255, s[8:9] offset:7488
	;; [unrolled: 1-line block ×3, first 2 shown]
	v_mul_u32_u24_e32 v21, 0x30c, v21
	s_clause 0x2
	global_load_b128 v[112:115], v255, s[8:9] offset:2496
	global_load_b128 v[116:119], v255, s[8:9] offset:3744
	;; [unrolled: 1-line block ×3, first 2 shown]
	v_lshlrev_b32_e32 v189, 4, v21
	s_wait_kmcnt 0x0
	v_mad_co_u64_u32 v[1:2], null, s14, v184, 0
	v_mad_co_u64_u32 v[3:4], null, s12, v22, 0
	s_mul_u64 s[2:3], s[12:13], 0x1860
	s_mul_u64 s[4:5], s[12:13], s[4:5]
	s_delay_alu instid0(VALU_DEP_1) | instskip(NEXT) | instid1(VALU_DEP_1)
	v_mad_co_u64_u32 v[5:6], null, s15, v184, v[2:3]
	v_mad_co_u64_u32 v[6:7], null, s13, v22, v[4:5]
	v_mov_b32_e32 v2, v5
	s_delay_alu instid0(VALU_DEP_1) | instskip(NEXT) | instid1(VALU_DEP_3)
	v_lshlrev_b64_e32 v[1:2], 4, v[1:2]
	v_mov_b32_e32 v4, v6
	s_delay_alu instid0(VALU_DEP_2) | instskip(NEXT) | instid1(VALU_DEP_2)
	v_add_co_u32 v1, vcc_lo, s18, v1
	v_lshlrev_b64_e32 v[3:4], 4, v[3:4]
	s_delay_alu instid0(VALU_DEP_4) | instskip(NEXT) | instid1(VALU_DEP_2)
	v_add_co_ci_u32_e32 v2, vcc_lo, s19, v2, vcc_lo
	v_add_co_u32 v1, vcc_lo, v1, v3
	s_wait_alu 0xfffd
	s_delay_alu instid0(VALU_DEP_2) | instskip(NEXT) | instid1(VALU_DEP_2)
	v_add_co_ci_u32_e32 v2, vcc_lo, v2, v4, vcc_lo
	v_add_co_u32 v5, vcc_lo, v1, s2
	s_wait_alu 0xfffd
	s_delay_alu instid0(VALU_DEP_2) | instskip(NEXT) | instid1(VALU_DEP_2)
	v_add_co_ci_u32_e32 v6, vcc_lo, s3, v2, vcc_lo
	v_add_co_u32 v9, vcc_lo, v5, s4
	s_wait_alu 0xfffd
	s_delay_alu instid0(VALU_DEP_2)
	v_add_co_ci_u32_e32 v10, vcc_lo, s5, v6, vcc_lo
	s_clause 0x1
	global_load_b128 v[1:4], v[1:2], off
	global_load_b128 v[5:8], v[5:6], off
	v_add_co_u32 v13, vcc_lo, v9, s2
	s_wait_alu 0xfffd
	v_add_co_ci_u32_e32 v14, vcc_lo, s3, v10, vcc_lo
	s_delay_alu instid0(VALU_DEP_2) | instskip(SKIP_1) | instid1(VALU_DEP_2)
	v_add_co_u32 v17, vcc_lo, v13, s4
	s_wait_alu 0xfffd
	v_add_co_ci_u32_e32 v18, vcc_lo, s5, v14, vcc_lo
	s_clause 0x1
	global_load_b128 v[9:12], v[9:10], off
	global_load_b128 v[13:16], v[13:14], off
	v_add_co_u32 v23, vcc_lo, v17, s2
	s_wait_alu 0xfffd
	v_add_co_ci_u32_e32 v24, vcc_lo, s3, v18, vcc_lo
	global_load_b128 v[17:20], v[17:18], off
	v_add_co_u32 v32, vcc_lo, v23, s4
	s_wait_alu 0xfffd
	v_add_co_ci_u32_e32 v33, vcc_lo, s5, v24, vcc_lo
	;; [unrolled: 4-line block ×4, first 2 shown]
	s_delay_alu instid0(VALU_DEP_2) | instskip(SKIP_1) | instid1(VALU_DEP_2)
	v_add_co_u32 v52, vcc_lo, v36, s2
	s_wait_alu 0xfffd
	v_add_co_ci_u32_e32 v53, vcc_lo, s3, v37, vcc_lo
	global_load_b128 v[44:47], v[34:35], off
	global_load_b128 v[31:34], v255, s[8:9] offset:4992
	global_load_b128 v[48:51], v[36:37], off
	global_load_b128 v[35:38], v255, s[8:9] offset:11232
	global_load_b128 v[52:55], v[52:53], off
	scratch_store_b32 off, v21, off offset:176 ; 4-byte Folded Spill
	s_load_b128 s[4:7], s[6:7], 0x0
	s_load_b64 s[2:3], s[0:1], 0x38
	v_cmp_gt_u16_e32 vcc_lo, 26, v0
	s_wait_loadcnt 0x13
	scratch_store_b128 off, v[27:30], off   ; 16-byte Folded Spill
	s_wait_loadcnt 0x12
	scratch_store_b128 off, v[96:99], off offset:16 ; 16-byte Folded Spill
	s_wait_loadcnt 0x11
	scratch_store_b128 off, v[100:103], off offset:32 ; 16-byte Folded Spill
	;; [unrolled: 2-line block ×3, first 2 shown]
	s_wait_loadcnt 0xe
	s_clause 0x1
	scratch_store_b128 off, v[112:115], off offset:80
	scratch_store_b128 off, v[108:111], off offset:64
	s_wait_loadcnt 0xd
	scratch_store_b128 off, v[116:119], off offset:96 ; 16-byte Folded Spill
	s_wait_loadcnt 0xc
	scratch_store_b128 off, v[120:123], off offset:112 ; 16-byte Folded Spill
	s_wait_loadcnt 0xb
	v_mul_f64_e32 v[56:57], v[3:4], v[98:99]
	v_mul_f64_e32 v[58:59], v[1:2], v[98:99]
	s_wait_loadcnt 0xa
	v_mul_f64_e32 v[60:61], v[7:8], v[29:30]
	v_mul_f64_e32 v[62:63], v[5:6], v[29:30]
	;; [unrolled: 3-line block ×10, first 2 shown]
	v_fma_f64 v[1:2], v[1:2], v[96:97], v[56:57]
	v_fma_f64 v[3:4], v[3:4], v[96:97], -v[58:59]
	v_fma_f64 v[5:6], v[5:6], v[27:28], v[60:61]
	v_fma_f64 v[7:8], v[7:8], v[27:28], -v[62:63]
	s_clause 0x1
	scratch_store_b128 off, v[31:34], off offset:128
	scratch_store_b128 off, v[35:38], off offset:144
	v_fma_f64 v[9:10], v[9:10], v[100:101], v[64:65]
	v_fma_f64 v[11:12], v[11:12], v[100:101], -v[66:67]
	v_fma_f64 v[13:14], v[13:14], v[104:105], v[68:69]
	v_fma_f64 v[15:16], v[15:16], v[104:105], -v[70:71]
	;; [unrolled: 2-line block ×4, first 2 shown]
	v_add_nc_u32_e32 v23, v255, v189
	v_fma_f64 v[24:25], v[40:41], v[116:117], v[80:81]
	v_fma_f64 v[26:27], v[42:43], v[116:117], -v[82:83]
	v_fma_f64 v[40:41], v[44:45], v[120:121], v[84:85]
	v_fma_f64 v[42:43], v[46:47], v[120:121], -v[86:87]
	;; [unrolled: 2-line block ×4, first 2 shown]
                                        ; implicit-def: $vgpr88_vgpr89
                                        ; implicit-def: $vgpr92_vgpr93
	ds_store_b128 v23, v[1:4]
	ds_store_b128 v23, v[9:12] offset:1248
	ds_store_b128 v23, v[13:16] offset:7488
	;; [unrolled: 1-line block ×9, first 2 shown]
	global_wb scope:SCOPE_SE
	s_wait_storecnt_dscnt 0x0
	s_wait_kmcnt 0x0
	s_barrier_signal -1
	s_barrier_wait -1
	global_inv scope:SCOPE_SE
	ds_load_b128 v[1:4], v23 offset:6240
	ds_load_b128 v[5:8], v23
	ds_load_b128 v[9:12], v23 offset:1248
	ds_load_b128 v[13:16], v23 offset:7488
	;; [unrolled: 1-line block ×8, first 2 shown]
	global_wb scope:SCOPE_SE
	s_wait_dscnt 0x0
	s_barrier_signal -1
	s_barrier_wait -1
	global_inv scope:SCOPE_SE
	v_add_f64_e64 v[56:57], v[5:6], -v[1:2]
	v_add_f64_e64 v[58:59], v[7:8], -v[3:4]
	;; [unrolled: 1-line block ×10, first 2 shown]
	v_lshlrev_b16 v1, 1, v0
	v_add_co_u32 v3, null, 0x4e, v22
	v_add_co_u32 v2, null, 0x9c, v22
	s_delay_alu instid0(VALU_DEP_2) | instskip(NEXT) | instid1(VALU_DEP_2)
	v_lshl_add_u32 v193, v3, 5, v189
	v_lshl_add_u32 v177, v2, 5, v189
	v_fma_f64 v[4:5], v[5:6], 2.0, -v[56:57]
	v_fma_f64 v[6:7], v[7:8], 2.0, -v[58:59]
	;; [unrolled: 1-line block ×10, first 2 shown]
	v_and_b32_e32 v12, 0xffff, v1
	v_add_co_u32 v1, null, 0xea, v22
	v_lshl_add_u32 v24, v22, 5, v189
	s_delay_alu instid0(VALU_DEP_3) | instskip(NEXT) | instid1(VALU_DEP_3)
	v_lshl_add_u32 v225, v12, 4, v189
	v_lshl_add_u32 v176, v1, 5, v189
	ds_store_b128 v225, v[4:7]
	ds_store_b128 v225, v[56:59] offset:16
	ds_store_b128 v193, v[8:11]
	ds_store_b128 v193, v[13:16] offset:16
	;; [unrolled: 2-line block ×4, first 2 shown]
	ds_store_b128 v24, v[48:51] offset:9984
	ds_store_b128 v24, v[40:43] offset:10000
	global_wb scope:SCOPE_SE
	s_wait_dscnt 0x0
	s_barrier_signal -1
	s_barrier_wait -1
	global_inv scope:SCOPE_SE
	ds_load_b128 v[56:59], v23
	ds_load_b128 v[52:55], v23 offset:1248
	ds_load_b128 v[76:79], v23 offset:8320
	;; [unrolled: 1-line block ×8, first 2 shown]
	s_and_saveexec_b32 s0, vcc_lo
	s_cbranch_execz .LBB0_3
; %bb.2:
	ds_load_b128 v[40:43], v23 offset:3744
	ds_load_b128 v[88:91], v23 offset:7904
	;; [unrolled: 1-line block ×3, first 2 shown]
.LBB0_3:
	s_wait_alu 0xfffe
	s_or_b32 exec_lo, exec_lo, s0
	v_and_b32_e32 v190, 1, v22
	s_mov_b32 s0, 0xe8584caa
	s_mov_b32 s1, 0x3febb67a
	s_mov_b32 s13, 0xbfebb67a
	s_wait_alu 0xfffe
	s_mov_b32 s12, s0
	v_lshlrev_b32_e32 v0, 5, v190
	v_lshrrev_b32_e32 v3, 1, v3
	v_lshrrev_b32_e32 v2, 1, v2
	;; [unrolled: 1-line block ×3, first 2 shown]
	s_clause 0x1
	global_load_b128 v[48:51], v0, s[10:11]
	global_load_b128 v[44:47], v0, s[10:11] offset:16
	v_lshrrev_b32_e32 v0, 1, v22
	v_mul_u32_u24_e32 v2, 6, v2
	scratch_store_b32 off, v1, off offset:184 ; 4-byte Folded Spill
	v_mul_u32_u24_e32 v1, 6, v3
	global_wb scope:SCOPE_SE
	s_wait_storecnt 0x0
	s_wait_loadcnt_dscnt 0x0
	v_mul_u32_u24_e32 v0, 6, v0
	v_or_b32_e32 v2, v2, v190
	s_barrier_signal -1
	v_or_b32_e32 v1, v1, v190
	s_barrier_wait -1
	v_or_b32_e32 v0, v0, v190
	v_lshl_add_u32 v194, v2, 4, v189
	global_inv scope:SCOPE_SE
	v_lshl_add_u32 v3, v0, 4, v189
	v_lshl_add_u32 v0, v1, 4, v189
	v_mul_f64_e32 v[4:5], v[86:87], v[50:51]
	v_mul_f64_e32 v[6:7], v[78:79], v[46:47]
	;; [unrolled: 1-line block ×16, first 2 shown]
	v_fma_f64 v[4:5], v[84:85], v[48:49], -v[4:5]
	v_fma_f64 v[6:7], v[76:77], v[44:45], -v[6:7]
	v_fma_f64 v[8:9], v[86:87], v[48:49], v[8:9]
	v_fma_f64 v[10:11], v[78:79], v[44:45], v[10:11]
	v_fma_f64 v[12:13], v[80:81], v[48:49], -v[12:13]
	v_fma_f64 v[14:15], v[64:65], v[44:45], -v[14:15]
	v_fma_f64 v[16:17], v[82:83], v[48:49], v[16:17]
	v_fma_f64 v[18:19], v[66:67], v[44:45], v[18:19]
	;; [unrolled: 4-line block ×4, first 2 shown]
	v_add_f64_e32 v[92:93], v[56:57], v[4:5]
	v_add_f64_e32 v[76:77], v[4:5], v[6:7]
	v_add_f64_e64 v[4:5], v[4:5], -v[6:7]
	v_add_f64_e32 v[78:79], v[8:9], v[10:11]
	v_add_f64_e64 v[100:101], v[8:9], -v[10:11]
	v_add_f64_e32 v[80:81], v[12:13], v[14:15]
	v_add_f64_e32 v[8:9], v[58:59], v[8:9]
	;; [unrolled: 1-line block ×13, first 2 shown]
	v_add_f64_e64 v[16:17], v[16:17], -v[18:19]
	v_add_f64_e64 v[12:13], v[12:13], -v[14:15]
	v_add_f64_e64 v[110:111], v[64:65], -v[66:67]
	v_add_f64_e64 v[20:21], v[20:21], -v[25:26]
	v_add_f64_e64 v[112:113], v[70:71], -v[74:75]
	v_add_f64_e64 v[114:115], v[68:69], -v[72:73]
	v_add_f64_e32 v[92:93], v[92:93], v[6:7]
	v_fma_f64 v[56:57], v[76:77], -0.5, v[56:57]
	v_fma_f64 v[58:59], v[78:79], -0.5, v[58:59]
	;; [unrolled: 1-line block ×3, first 2 shown]
	v_add_f64_e32 v[94:95], v[8:9], v[10:11]
	v_fma_f64 v[78:79], v[82:83], -0.5, v[54:55]
	v_add_f64_e32 v[68:69], v[96:97], v[14:15]
	v_fma_f64 v[60:61], v[84:85], -0.5, v[60:61]
	;; [unrolled: 2-line block ×5, first 2 shown]
	v_add_f64_e32 v[88:89], v[106:107], v[72:73]
	v_add_f64_e32 v[90:91], v[108:109], v[74:75]
	v_fma_f64 v[52:53], v[100:101], s[0:1], v[56:57]
	s_wait_alu 0xfffe
	v_fma_f64 v[64:65], v[100:101], s[12:13], v[56:57]
	v_fma_f64 v[54:55], v[4:5], s[12:13], v[58:59]
	;; [unrolled: 1-line block ×15, first 2 shown]
	ds_store_b128 v3, v[92:95]
	ds_store_b128 v3, v[52:55] offset:32
	scratch_store_b32 off, v3, off offset:172 ; 4-byte Folded Spill
	ds_store_b128 v3, v[64:67] offset:64
	ds_store_b128 v0, v[68:71]
	ds_store_b128 v0, v[80:83] offset:32
	scratch_store_b32 off, v0, off offset:168 ; 4-byte Folded Spill
	ds_store_b128 v0, v[84:87] offset:64
	ds_store_b128 v194, v[96:99]
	ds_store_b128 v194, v[100:103] offset:32
	ds_store_b128 v194, v[108:111] offset:64
	s_and_saveexec_b32 s0, vcc_lo
	s_cbranch_execz .LBB0_5
; %bb.4:
	scratch_load_b32 v0, off, off offset:184 ; 4-byte Folded Reload
	s_wait_loadcnt 0x0
	v_mul_u32_u24_e32 v0, 6, v0
	s_delay_alu instid0(VALU_DEP_1) | instskip(NEXT) | instid1(VALU_DEP_1)
	v_or_b32_e32 v0, v0, v190
	v_lshl_add_u32 v0, v0, 4, v189
	ds_store_b128 v0, v[88:91]
	ds_store_b128 v0, v[104:107] offset:32
	ds_store_b128 v0, v[72:75] offset:64
.LBB0_5:
	s_wait_alu 0xfffe
	s_or_b32 exec_lo, exec_lo, s0
	v_add_co_u32 v144, s0, s8, v255
	s_wait_alu 0xf1ff
	v_add_co_ci_u32_e64 v145, null, s9, 0, s0
	v_cmp_gt_u16_e64 s0, 60, v22
	global_wb scope:SCOPE_SE
	s_wait_storecnt_dscnt 0x0
	s_barrier_signal -1
	s_barrier_wait -1
	global_inv scope:SCOPE_SE
                                        ; implicit-def: $vgpr76_vgpr77
	s_and_saveexec_b32 s1, s0
	s_cbranch_execz .LBB0_7
; %bb.6:
	ds_load_b128 v[92:95], v23
	ds_load_b128 v[52:55], v23 offset:960
	ds_load_b128 v[64:67], v23 offset:1920
	ds_load_b128 v[68:71], v23 offset:2880
	ds_load_b128 v[80:83], v23 offset:3840
	ds_load_b128 v[84:87], v23 offset:4800
	ds_load_b128 v[96:99], v23 offset:5760
	ds_load_b128 v[100:103], v23 offset:6720
	ds_load_b128 v[108:111], v23 offset:7680
	ds_load_b128 v[88:91], v23 offset:8640
	ds_load_b128 v[104:107], v23 offset:9600
	ds_load_b128 v[72:75], v23 offset:10560
	ds_load_b128 v[76:79], v23 offset:11520
.LBB0_7:
	s_wait_alu 0xfffe
	s_or_b32 exec_lo, exec_lo, s1
	v_and_b32_e32 v0, 0xff, v22
	s_mov_b32 s18, 0x4267c47c
	s_mov_b32 s19, 0xbfddbe06
	;; [unrolled: 1-line block ×4, first 2 shown]
	v_mul_lo_u16 v0, 0xab, v0
	s_mov_b32 s15, 0x3fec55a7
	s_mov_b32 s17, 0xbfea55e2
	;; [unrolled: 1-line block ×4, first 2 shown]
	v_lshrrev_b16 v25, 10, v0
	s_mov_b32 s24, 0x66966769
	s_mov_b32 s25, 0xbfefc445
	;; [unrolled: 1-line block ×4, first 2 shown]
	v_mul_lo_u16 v0, v25, 6
	v_add_nc_u32_e32 v24, 0x2700, v24
	s_mov_b32 s28, 0x2ef20147
	s_mov_b32 s29, 0xbfedeba7
	;; [unrolled: 1-line block ×3, first 2 shown]
	v_sub_nc_u16 v0, v22, v0
	s_mov_b32 s23, 0xbfd6b1d8
	s_mov_b32 s38, 0x24c2f84
	;; [unrolled: 1-line block ×4, first 2 shown]
	v_and_b32_e32 v0, 0xff, v0
	s_mov_b32 s34, s38
	s_mov_b32 s26, 0xd0032e0c
	;; [unrolled: 1-line block ×4, first 2 shown]
	scratch_store_b32 off, v0, off offset:160 ; 4-byte Folded Spill
	v_mad_co_u64_u32 v[0:1], null, 0xc0, v0, s[10:11]
	s_mov_b32 s37, 0xbfcea1e5
	s_mov_b32 s30, 0x93053d00
	;; [unrolled: 1-line block ×5, first 2 shown]
	s_clause 0x1
	global_load_b128 v[40:43], v[0:1], off offset:64
	global_load_b128 v[56:59], v[0:1], off offset:80
	s_mov_b32 s43, 0x3fddbe06
	s_wait_alu 0xfffe
	s_mov_b32 s42, s18
	s_mov_b32 s45, 0x3fedeba7
	;; [unrolled: 1-line block ×3, first 2 shown]
	s_wait_loadcnt_dscnt 0x10b
	v_mul_f64_e32 v[2:3], v[54:55], v[42:43]
	s_delay_alu instid0(VALU_DEP_1) | instskip(SKIP_1) | instid1(VALU_DEP_1)
	v_fma_f64 v[205:206], v[52:53], v[40:41], -v[2:3]
	v_mul_f64_e32 v[2:3], v[52:53], v[42:43]
	v_fma_f64 v[209:210], v[54:55], v[40:41], v[2:3]
	s_clause 0x1
	global_load_b128 v[52:55], v[0:1], off offset:240
	global_load_b128 v[60:63], v[0:1], off offset:224
	s_wait_loadcnt_dscnt 0x100
	v_mul_f64_e32 v[2:3], v[76:77], v[54:55]
	s_delay_alu instid0(VALU_DEP_1) | instskip(SKIP_1) | instid1(VALU_DEP_2)
	v_fma_f64 v[28:29], v[78:79], v[52:53], v[2:3]
	v_mul_f64_e32 v[2:3], v[78:79], v[54:55]
	v_add_f64_e64 v[6:7], v[209:210], -v[28:29]
	s_delay_alu instid0(VALU_DEP_2) | instskip(SKIP_1) | instid1(VALU_DEP_3)
	v_fma_f64 v[30:31], v[76:77], v[52:53], -v[2:3]
	v_mul_f64_e32 v[2:3], v[66:67], v[58:59]
	v_mul_f64_e32 v[4:5], s[18:19], v[6:7]
	s_delay_alu instid0(VALU_DEP_3) | instskip(NEXT) | instid1(VALU_DEP_3)
	v_add_f64_e64 v[12:13], v[205:206], -v[30:31]
	v_fma_f64 v[36:37], v[64:65], v[56:57], -v[2:3]
	v_mul_f64_e32 v[2:3], v[64:65], v[58:59]
	s_delay_alu instid0(VALU_DEP_3) | instskip(NEXT) | instid1(VALU_DEP_2)
	v_mul_f64_e32 v[10:11], s[18:19], v[12:13]
	v_fma_f64 v[114:115], v[66:67], v[56:57], v[2:3]
	s_wait_loadcnt 0x0
	v_mul_f64_e32 v[2:3], v[72:73], v[62:63]
	s_delay_alu instid0(VALU_DEP_1) | instskip(SKIP_1) | instid1(VALU_DEP_2)
	v_fma_f64 v[32:33], v[74:75], v[60:61], v[2:3]
	v_mul_f64_e32 v[2:3], v[74:75], v[62:63]
	v_add_f64_e64 v[170:171], v[114:115], -v[32:33]
	s_delay_alu instid0(VALU_DEP_2)
	v_fma_f64 v[34:35], v[72:73], v[60:61], -v[2:3]
	s_clause 0x1
	global_load_b128 v[64:67], v[0:1], off offset:96
	global_load_b128 v[72:75], v[0:1], off offset:112
	v_add_f64_e32 v[162:163], v[114:115], v[32:33]
	v_mul_f64_e32 v[38:39], s[16:17], v[170:171]
	v_add_f64_e64 v[172:173], v[36:37], -v[34:35]
	v_mul_f64_e32 v[235:236], s[28:29], v[170:171]
	v_mul_f64_e32 v[239:240], s[36:37], v[170:171]
	s_delay_alu instid0(VALU_DEP_3) | instskip(SKIP_2) | instid1(VALU_DEP_3)
	v_mul_f64_e32 v[112:113], s[16:17], v[172:173]
	v_mul_f64_e32 v[241:242], s[28:29], v[172:173]
	;; [unrolled: 1-line block ×3, first 2 shown]
	v_fma_f64 v[16:17], v[162:163], s[12:13], -v[112:113]
	s_delay_alu instid0(VALU_DEP_3) | instskip(NEXT) | instid1(VALU_DEP_3)
	v_fma_f64 v[20:21], v[162:163], s[22:23], -v[241:242]
	v_fma_f64 v[140:141], v[162:163], s[30:31], -v[247:248]
	s_wait_loadcnt 0x1
	v_mul_f64_e32 v[2:3], v[70:71], v[66:67]
	s_delay_alu instid0(VALU_DEP_1) | instskip(SKIP_1) | instid1(VALU_DEP_1)
	v_fma_f64 v[130:131], v[68:69], v[64:65], -v[2:3]
	v_mul_f64_e32 v[2:3], v[68:69], v[66:67]
	v_fma_f64 v[18:19], v[70:71], v[64:65], v[2:3]
	s_clause 0x1
	global_load_b128 v[68:71], v[0:1], off offset:208
	global_load_b128 v[76:79], v[0:1], off offset:192
	s_wait_loadcnt 0x1
	v_mul_f64_e32 v[2:3], v[106:107], v[70:71]
	s_delay_alu instid0(VALU_DEP_1) | instskip(SKIP_1) | instid1(VALU_DEP_2)
	v_fma_f64 v[132:133], v[104:105], v[68:69], -v[2:3]
	v_mul_f64_e32 v[2:3], v[104:105], v[70:71]
	v_add_f64_e32 v[166:167], v[130:131], v[132:133]
	s_delay_alu instid0(VALU_DEP_2) | instskip(SKIP_2) | instid1(VALU_DEP_3)
	v_fma_f64 v[134:135], v[106:107], v[68:69], v[2:3]
	v_mul_f64_e32 v[2:3], v[82:83], v[74:75]
	v_add_f64_e64 v[185:186], v[130:131], -v[132:133]
	v_add_f64_e64 v[182:183], v[18:19], -v[134:135]
	s_delay_alu instid0(VALU_DEP_3)
	v_fma_f64 v[150:151], v[80:81], v[72:73], -v[2:3]
	v_mul_f64_e32 v[2:3], v[80:81], v[74:75]
	v_add_f64_e32 v[178:179], v[18:19], v[134:135]
	v_mul_f64_e32 v[223:224], s[36:37], v[185:186]
	v_mul_f64_e32 v[160:161], s[44:45], v[185:186]
	v_mul_f64_e32 v[120:121], s[24:25], v[182:183]
	v_mul_f64_e32 v[227:228], s[36:37], v[182:183]
	v_fma_f64 v[152:153], v[82:83], v[72:73], v[2:3]
	s_wait_loadcnt 0x0
	v_mul_f64_e32 v[2:3], v[90:91], v[78:79]
	v_mul_f64_e32 v[249:250], s[44:45], v[182:183]
	s_delay_alu instid0(VALU_DEP_2) | instskip(SKIP_1) | instid1(VALU_DEP_2)
	v_fma_f64 v[146:147], v[88:89], v[76:77], -v[2:3]
	v_mul_f64_e32 v[2:3], v[88:89], v[78:79]
	v_add_f64_e32 v[174:175], v[150:151], v[146:147]
	s_delay_alu instid0(VALU_DEP_2)
	v_fma_f64 v[148:149], v[90:91], v[76:77], v[2:3]
	s_clause 0x1
	global_load_b128 v[80:83], v[0:1], off offset:128
	global_load_b128 v[88:91], v[0:1], off offset:144
	v_add_f64_e64 v[195:196], v[150:151], -v[146:147]
	v_add_f64_e64 v[207:208], v[152:153], -v[148:149]
	v_add_f64_e32 v[187:188], v[152:153], v[148:149]
	s_delay_alu instid0(VALU_DEP_3) | instskip(SKIP_1) | instid1(VALU_DEP_4)
	v_mul_f64_e32 v[233:234], s[38:39], v[195:196]
	v_mul_f64_e32 v[164:165], s[42:43], v[195:196]
	;; [unrolled: 1-line block ×4, first 2 shown]
	s_wait_loadcnt 0x1
	v_mul_f64_e32 v[2:3], v[86:87], v[82:83]
	s_delay_alu instid0(VALU_DEP_1) | instskip(SKIP_1) | instid1(VALU_DEP_1)
	v_fma_f64 v[154:155], v[84:85], v[80:81], -v[2:3]
	v_mul_f64_e32 v[2:3], v[84:85], v[82:83]
	v_fma_f64 v[156:157], v[86:87], v[80:81], v[2:3]
	s_clause 0x1
	global_load_b128 v[84:87], v[0:1], off offset:176
	global_load_b128 v[104:107], v[0:1], off offset:160
	v_add_f64_e32 v[2:3], v[205:206], v[30:31]
	s_clause 0x1
	scratch_store_b64 off, v[18:19], off offset:204
	scratch_store_b32 off, v24, off offset:180
	v_and_b32_e32 v24, 0xffff, v25
	scratch_store_b32 off, v24, off offset:164 ; 4-byte Folded Spill
	s_wait_loadcnt 0x1
	v_mul_f64_e32 v[0:1], v[110:111], v[86:87]
	s_delay_alu instid0(VALU_DEP_1) | instskip(SKIP_1) | instid1(VALU_DEP_2)
	v_fma_f64 v[158:159], v[108:109], v[84:85], -v[0:1]
	v_mul_f64_e32 v[0:1], v[108:109], v[86:87]
	v_add_f64_e32 v[191:192], v[154:155], v[158:159]
	s_delay_alu instid0(VALU_DEP_2) | instskip(SKIP_2) | instid1(VALU_DEP_3)
	v_fma_f64 v[108:109], v[110:111], v[84:85], v[0:1]
	v_mul_f64_e32 v[0:1], v[98:99], v[90:91]
	v_add_f64_e64 v[215:216], v[154:155], -v[158:159]
	v_add_f64_e64 v[217:218], v[156:157], -v[108:109]
	s_delay_alu instid0(VALU_DEP_3)
	v_fma_f64 v[110:111], v[96:97], v[88:89], -v[0:1]
	v_mul_f64_e32 v[0:1], v[96:97], v[90:91]
	v_add_f64_e32 v[201:202], v[156:157], v[108:109]
	v_mul_f64_e32 v[213:214], s[34:35], v[215:216]
	v_mul_f64_e32 v[245:246], s[40:41], v[215:216]
	;; [unrolled: 1-line block ×6, first 2 shown]
	v_fma_f64 v[98:99], v[98:99], v[88:89], v[0:1]
	s_wait_loadcnt 0x0
	v_mul_f64_e32 v[0:1], v[102:103], v[106:107]
	v_mul_f64_e32 v[180:181], s[16:17], v[217:218]
	s_delay_alu instid0(VALU_DEP_2) | instskip(SKIP_1) | instid1(VALU_DEP_2)
	v_fma_f64 v[253:254], v[100:101], v[104:105], -v[0:1]
	v_mul_f64_e32 v[0:1], v[100:101], v[106:107]
	v_add_f64_e32 v[197:198], v[110:111], v[253:254]
	s_delay_alu instid0(VALU_DEP_2) | instskip(SKIP_3) | instid1(VALU_DEP_4)
	v_fma_f64 v[128:129], v[102:103], v[104:105], v[0:1]
	v_fma_f64 v[0:1], v[2:3], s[14:15], v[4:5]
	v_add_f64_e32 v[102:103], v[36:37], v[34:35]
	v_add_f64_e64 v[219:220], v[110:111], -v[253:254]
	v_add_f64_e64 v[221:222], v[98:99], -v[128:129]
	s_delay_alu instid0(VALU_DEP_4) | instskip(NEXT) | instid1(VALU_DEP_4)
	v_add_f64_e32 v[0:1], v[92:93], v[0:1]
	v_fma_f64 v[8:9], v[102:103], s[12:13], v[38:39]
	v_add_f64_e32 v[211:212], v[98:99], v[128:129]
	v_mul_f64_e32 v[231:232], s[36:37], v[219:220]
	v_mul_f64_e32 v[251:252], s[42:43], v[219:220]
	;; [unrolled: 1-line block ×4, first 2 shown]
	v_add_f64_e32 v[0:1], v[8:9], v[0:1]
	v_add_f64_e32 v[8:9], v[209:210], v[28:29]
	v_mul_f64_e32 v[100:101], s[34:35], v[221:222]
	s_delay_alu instid0(VALU_DEP_2) | instskip(NEXT) | instid1(VALU_DEP_1)
	v_fma_f64 v[14:15], v[8:9], s[14:15], -v[10:11]
	v_add_f64_e32 v[14:15], v[94:95], v[14:15]
	s_delay_alu instid0(VALU_DEP_1) | instskip(SKIP_1) | instid1(VALU_DEP_1)
	v_add_f64_e32 v[14:15], v[16:17], v[14:15]
	v_fma_f64 v[16:17], v[166:167], s[20:21], v[120:121]
	v_add_f64_e32 v[0:1], v[16:17], v[0:1]
	v_mul_f64_e32 v[16:17], s[24:25], v[185:186]
	scratch_store_b64 off, v[16:17], off offset:188 ; 8-byte Folded Spill
	v_fma_f64 v[16:17], v[178:179], s[20:21], -v[16:17]
	s_delay_alu instid0(VALU_DEP_1) | instskip(SKIP_1) | instid1(VALU_DEP_1)
	v_add_f64_e32 v[14:15], v[16:17], v[14:15]
	v_fma_f64 v[16:17], v[174:175], s[22:23], v[122:123]
	v_add_f64_e32 v[0:1], v[16:17], v[0:1]
	v_mul_f64_e32 v[16:17], s[28:29], v[195:196]
	scratch_store_b64 off, v[16:17], off offset:196 ; 8-byte Folded Spill
	v_fma_f64 v[16:17], v[187:188], s[22:23], -v[16:17]
	global_wb scope:SCOPE_SE
	s_wait_storecnt 0x0
	s_barrier_signal -1
	s_barrier_wait -1
	global_inv scope:SCOPE_SE
	v_add_f64_e32 v[14:15], v[16:17], v[14:15]
	v_fma_f64 v[16:17], v[191:192], s[26:27], v[199:200]
	s_delay_alu instid0(VALU_DEP_1) | instskip(SKIP_1) | instid1(VALU_DEP_1)
	v_add_f64_e32 v[0:1], v[16:17], v[0:1]
	v_fma_f64 v[16:17], v[201:202], s[26:27], -v[213:214]
	v_add_f64_e32 v[14:15], v[16:17], v[14:15]
	v_fma_f64 v[16:17], v[197:198], s[30:31], v[203:204]
	s_delay_alu instid0(VALU_DEP_1) | instskip(SKIP_2) | instid1(VALU_DEP_2)
	v_add_f64_e32 v[116:117], v[16:17], v[0:1]
	v_fma_f64 v[0:1], v[211:212], s[30:31], -v[231:232]
	v_fma_f64 v[16:17], v[102:103], s[22:23], v[235:236]
	v_add_f64_e32 v[118:119], v[0:1], v[14:15]
	v_mul_f64_e32 v[14:15], s[16:17], v[6:7]
	s_delay_alu instid0(VALU_DEP_1) | instskip(NEXT) | instid1(VALU_DEP_1)
	v_fma_f64 v[0:1], v[2:3], s[12:13], v[14:15]
	v_add_f64_e32 v[0:1], v[92:93], v[0:1]
	s_delay_alu instid0(VALU_DEP_1) | instskip(SKIP_1) | instid1(VALU_DEP_1)
	v_add_f64_e32 v[0:1], v[16:17], v[0:1]
	v_mul_f64_e32 v[16:17], s[16:17], v[12:13]
	v_fma_f64 v[18:19], v[8:9], s[12:13], -v[16:17]
	s_delay_alu instid0(VALU_DEP_1) | instskip(NEXT) | instid1(VALU_DEP_1)
	v_add_f64_e32 v[18:19], v[94:95], v[18:19]
	v_add_f64_e32 v[18:19], v[20:21], v[18:19]
	v_fma_f64 v[20:21], v[166:167], s[30:31], v[227:228]
	s_delay_alu instid0(VALU_DEP_1) | instskip(SKIP_1) | instid1(VALU_DEP_1)
	v_add_f64_e32 v[0:1], v[20:21], v[0:1]
	v_fma_f64 v[20:21], v[178:179], s[30:31], -v[223:224]
	v_add_f64_e32 v[18:19], v[20:21], v[18:19]
	v_fma_f64 v[20:21], v[174:175], s[26:27], v[229:230]
	s_delay_alu instid0(VALU_DEP_1) | instskip(SKIP_1) | instid1(VALU_DEP_1)
	v_add_f64_e32 v[0:1], v[20:21], v[0:1]
	v_fma_f64 v[20:21], v[187:188], s[26:27], -v[233:234]
	;; [unrolled: 5-line block ×3, first 2 shown]
	v_add_f64_e32 v[18:19], v[20:21], v[18:19]
	v_fma_f64 v[20:21], v[197:198], s[14:15], v[243:244]
	s_delay_alu instid0(VALU_DEP_1) | instskip(SKIP_2) | instid1(VALU_DEP_2)
	v_add_f64_e32 v[136:137], v[20:21], v[0:1]
	v_fma_f64 v[0:1], v[211:212], s[14:15], -v[251:252]
	v_fma_f64 v[20:21], v[102:103], s[30:31], v[239:240]
	v_add_f64_e32 v[138:139], v[0:1], v[18:19]
	v_mul_f64_e32 v[18:19], s[24:25], v[6:7]
	s_delay_alu instid0(VALU_DEP_1) | instskip(NEXT) | instid1(VALU_DEP_1)
	v_fma_f64 v[0:1], v[2:3], s[20:21], v[18:19]
	v_add_f64_e32 v[0:1], v[92:93], v[0:1]
	s_delay_alu instid0(VALU_DEP_1) | instskip(SKIP_1) | instid1(VALU_DEP_1)
	v_add_f64_e32 v[0:1], v[20:21], v[0:1]
	v_mul_f64_e32 v[20:21], s[24:25], v[12:13]
	v_fma_f64 v[26:27], v[8:9], s[20:21], -v[20:21]
	s_delay_alu instid0(VALU_DEP_1) | instskip(NEXT) | instid1(VALU_DEP_1)
	v_add_f64_e32 v[26:27], v[94:95], v[26:27]
	v_add_f64_e32 v[26:27], v[140:141], v[26:27]
	v_fma_f64 v[140:141], v[166:167], s[22:23], v[249:250]
	s_delay_alu instid0(VALU_DEP_1) | instskip(SKIP_1) | instid1(VALU_DEP_1)
	v_add_f64_e32 v[0:1], v[140:141], v[0:1]
	v_fma_f64 v[140:141], v[178:179], s[22:23], -v[160:161]
	v_add_f64_e32 v[26:27], v[140:141], v[26:27]
	v_fma_f64 v[140:141], v[174:175], s[14:15], v[96:97]
	s_delay_alu instid0(VALU_DEP_1) | instskip(SKIP_1) | instid1(VALU_DEP_1)
	v_add_f64_e32 v[0:1], v[140:141], v[0:1]
	v_fma_f64 v[140:141], v[187:188], s[14:15], -v[164:165]
	;; [unrolled: 5-line block ×3, first 2 shown]
	v_add_f64_e32 v[26:27], v[140:141], v[26:27]
	v_fma_f64 v[140:141], v[197:198], s[26:27], v[100:101]
	s_delay_alu instid0(VALU_DEP_1) | instskip(SKIP_1) | instid1(VALU_DEP_1)
	v_add_f64_e32 v[140:141], v[140:141], v[0:1]
	v_mul_f64_e32 v[0:1], s[34:35], v[219:220]
	v_fma_f64 v[142:143], v[211:212], s[26:27], -v[0:1]
	s_delay_alu instid0(VALU_DEP_1)
	v_add_f64_e32 v[142:143], v[142:143], v[26:27]
	s_and_saveexec_b32 s1, s0
	s_cbranch_execz .LBB0_9
; %bb.8:
	v_mul_f64_e32 v[24:25], s[30:31], v[8:9]
	s_clause 0x3
	scratch_store_b64 off, v[28:29], off offset:220
	scratch_store_b64 off, v[30:31], off offset:228
	;; [unrolled: 1-line block ×4, first 2 shown]
	v_mul_f64_e32 v[28:29], s[26:27], v[8:9]
	v_mul_f64_e32 v[32:33], s[22:23], v[8:9]
	s_mov_b32 s47, 0x3fcea1e5
	s_mov_b32 s46, s36
	s_clause 0x3
	scratch_store_b64 off, v[36:37], off offset:252
	scratch_store_b64 off, v[38:39], off offset:276
	scratch_store_b32 off, v176, off offset:212
	scratch_store_b32 off, v177, off offset:216
	s_mov_b32 s49, 0x3fea55e2
	s_mov_b32 s48, s16
	v_dual_mov_b32 v127, v113 :: v_dual_mov_b32 v126, v112
	v_mov_b32_e32 v125, v194
	v_fma_f64 v[26:27], v[12:13], s[46:47], v[24:25]
	v_fma_f64 v[24:25], v[12:13], s[36:37], v[24:25]
	;; [unrolled: 1-line block ×6, first 2 shown]
	v_mul_f64_e32 v[32:33], s[20:21], v[8:9]
	v_add_f64_e32 v[24:25], v[94:95], v[24:25]
	v_add_f64_e32 v[30:31], v[94:95], v[30:31]
	;; [unrolled: 1-line block ×3, first 2 shown]
	s_delay_alu instid0(VALU_DEP_4)
	v_add_f64_e32 v[20:21], v[20:21], v[32:33]
	v_mul_f64_e32 v[32:33], s[20:21], v[2:3]
	scratch_store_b64 off, v[28:29], off offset:316 ; 8-byte Folded Spill
	v_add_f64_e32 v[28:29], v[94:95], v[34:35]
	v_dual_mov_b32 v34, v193 :: v_dual_mov_b32 v35, v225
	v_add_f64_e64 v[18:19], v[32:33], -v[18:19]
	v_mul_f64_e32 v[32:33], s[12:13], v[8:9]
	v_mul_f64_e32 v[8:9], s[14:15], v[8:9]
	v_add_f64_e32 v[20:21], v[94:95], v[20:21]
	v_dual_mov_b32 v225, v241 :: v_dual_mov_b32 v226, v242
	v_dual_mov_b32 v242, v204 :: v_dual_mov_b32 v241, v203
	v_dual_mov_b32 v204, v121 :: v_dual_mov_b32 v203, v120
	v_dual_mov_b32 v120, v22 :: v_dual_mov_b32 v121, v190
	v_mov_b32_e32 v22, v189
	v_mul_f64_e32 v[189:190], s[40:41], v[221:222]
	v_mul_f64_e32 v[193:194], s[28:29], v[221:222]
	scratch_store_b64 off, v[28:29], off offset:308 ; 8-byte Folded Spill
	v_add_f64_e32 v[18:19], v[92:93], v[18:19]
	v_add_f64_e32 v[16:17], v[16:17], v[32:33]
	v_mul_f64_e32 v[32:33], s[12:13], v[2:3]
	v_add_f64_e32 v[8:9], v[10:11], v[8:9]
	v_mul_f64_e32 v[10:11], s[36:37], v[6:7]
	s_delay_alu instid0(VALU_DEP_4) | instskip(NEXT) | instid1(VALU_DEP_4)
	v_add_f64_e32 v[16:17], v[94:95], v[16:17]
	v_add_f64_e64 v[14:15], v[32:33], -v[14:15]
	v_mul_f64_e32 v[32:33], s[34:35], v[6:7]
	v_mul_f64_e32 v[6:7], s[28:29], v[6:7]
	v_fma_f64 v[36:37], v[2:3], s[30:31], v[10:11]
	v_fma_f64 v[10:11], v[2:3], s[30:31], -v[10:11]
	v_add_f64_e32 v[14:15], v[92:93], v[14:15]
	v_fma_f64 v[38:39], v[2:3], s[26:27], v[32:33]
	v_fma_f64 v[176:177], v[2:3], s[22:23], v[6:7]
	v_fma_f64 v[32:33], v[2:3], s[26:27], -v[32:33]
	v_fma_f64 v[6:7], v[2:3], s[22:23], -v[6:7]
	v_mul_f64_e32 v[2:3], s[14:15], v[2:3]
	v_add_f64_e32 v[10:11], v[92:93], v[10:11]
	v_add_f64_e32 v[28:29], v[92:93], v[176:177]
	;; [unrolled: 1-line block ×3, first 2 shown]
	v_mul_f64_e32 v[12:13], s[26:27], v[178:179]
	v_add_f64_e64 v[2:3], v[2:3], -v[4:5]
	v_add_f64_e32 v[4:5], v[94:95], v[209:210]
	v_add_f64_e32 v[32:33], v[92:93], v[32:33]
	scratch_store_b64 off, v[28:29], off offset:300 ; 8-byte Folded Spill
	v_add_f64_e32 v[28:29], v[92:93], v[6:7]
	v_add_f64_e32 v[6:7], v[94:95], v[8:9]
	;; [unrolled: 1-line block ×3, first 2 shown]
	scratch_store_b64 off, v[4:5], off offset:260 ; 8-byte Folded Spill
	v_add_f64_e32 v[4:5], v[92:93], v[205:206]
	v_mul_f64_e32 v[8:9], s[42:43], v[170:171]
	scratch_store_b64 off, v[6:7], off offset:284 ; 8-byte Folded Spill
	v_mul_f64_e32 v[6:7], s[14:15], v[162:163]
	s_clause 0x1
	scratch_store_b64 off, v[2:3], off offset:292
	scratch_store_b64 off, v[4:5], off offset:268
	v_add_f64_e32 v[4:5], v[94:95], v[26:27]
	v_add_f64_e32 v[26:27], v[92:93], v[36:37]
	v_add_f64_e32 v[36:37], v[92:93], v[38:39]
	v_dual_mov_b32 v38, v122 :: v_dual_mov_b32 v39, v123
	v_dual_mov_b32 v122, v132 :: v_dual_mov_b32 v123, v133
	;; [unrolled: 1-line block ×3, first 2 shown]
	v_mul_f64_e32 v[114:115], s[20:21], v[211:212]
	v_fma_f64 v[2:3], v[172:173], s[18:19], v[6:7]
	v_fma_f64 v[6:7], v[172:173], s[42:43], v[6:7]
	s_delay_alu instid0(VALU_DEP_2) | instskip(SKIP_2) | instid1(VALU_DEP_4)
	v_add_f64_e32 v[2:3], v[2:3], v[4:5]
	v_fma_f64 v[4:5], v[102:103], s[14:15], v[8:9]
	v_fma_f64 v[8:9], v[102:103], s[14:15], -v[8:9]
	v_add_f64_e32 v[6:7], v[6:7], v[24:25]
	s_delay_alu instid0(VALU_DEP_3) | instskip(SKIP_1) | instid1(VALU_DEP_4)
	v_add_f64_e32 v[4:5], v[4:5], v[26:27]
	v_fma_f64 v[26:27], v[185:186], s[38:39], v[12:13]
	v_add_f64_e32 v[8:9], v[8:9], v[10:11]
	v_fma_f64 v[10:11], v[185:186], s[34:35], v[12:13]
	v_fma_f64 v[12:13], v[197:198], s[20:21], -v[189:190]
	s_delay_alu instid0(VALU_DEP_4) | instskip(SKIP_1) | instid1(VALU_DEP_4)
	v_add_f64_e32 v[2:3], v[26:27], v[2:3]
	v_mul_f64_e32 v[26:27], s[34:35], v[182:183]
	v_add_f64_e32 v[6:7], v[10:11], v[6:7]
	s_delay_alu instid0(VALU_DEP_2) | instskip(SKIP_2) | instid1(VALU_DEP_3)
	v_fma_f64 v[92:93], v[166:167], s[26:27], v[26:27]
	v_fma_f64 v[10:11], v[166:167], s[26:27], -v[26:27]
	v_mul_f64_e32 v[26:27], s[22:23], v[162:163]
	v_add_f64_e32 v[4:5], v[92:93], v[4:5]
	v_mul_f64_e32 v[92:93], s[12:13], v[187:188]
	s_delay_alu instid0(VALU_DEP_4) | instskip(NEXT) | instid1(VALU_DEP_4)
	v_add_f64_e32 v[8:9], v[10:11], v[8:9]
	v_add_f64_e32 v[26:27], v[225:226], v[26:27]
	v_mul_f64_e32 v[225:226], s[30:31], v[166:167]
	s_delay_alu instid0(VALU_DEP_4) | instskip(SKIP_2) | instid1(VALU_DEP_4)
	v_fma_f64 v[94:95], v[195:196], s[16:17], v[92:93]
	v_fma_f64 v[10:11], v[195:196], s[48:49], v[92:93]
	v_mul_f64_e32 v[92:93], s[20:21], v[162:163]
	v_add_f64_e64 v[225:226], v[225:226], -v[227:228]
	v_mul_f64_e32 v[227:228], s[22:23], v[102:103]
	v_add_f64_e32 v[16:17], v[26:27], v[16:17]
	v_mul_f64_e32 v[26:27], s[20:21], v[191:192]
	v_add_f64_e32 v[2:3], v[94:95], v[2:3]
	;; [unrolled: 2-line block ×3, first 2 shown]
	s_delay_alu instid0(VALU_DEP_4) | instskip(NEXT) | instid1(VALU_DEP_3)
	v_add_f64_e64 v[26:27], v[26:27], -v[237:238]
	v_fma_f64 v[205:206], v[174:175], s[12:13], v[94:95]
	v_fma_f64 v[10:11], v[174:175], s[12:13], -v[94:95]
	v_mul_f64_e32 v[94:95], s[16:17], v[182:183]
	s_delay_alu instid0(VALU_DEP_3) | instskip(SKIP_1) | instid1(VALU_DEP_4)
	v_add_f64_e32 v[4:5], v[205:206], v[4:5]
	v_mul_f64_e32 v[205:206], s[22:23], v[201:202]
	v_add_f64_e32 v[8:9], v[10:11], v[8:9]
	s_delay_alu instid0(VALU_DEP_2) | instskip(SKIP_2) | instid1(VALU_DEP_3)
	v_fma_f64 v[209:210], v[215:216], s[44:45], v[205:206]
	v_fma_f64 v[10:11], v[215:216], s[28:29], v[205:206]
	v_mul_f64_e32 v[205:206], s[42:43], v[217:218]
	v_add_f64_e32 v[2:3], v[209:210], v[2:3]
	v_mul_f64_e32 v[209:210], s[28:29], v[217:218]
	s_delay_alu instid0(VALU_DEP_4) | instskip(NEXT) | instid1(VALU_DEP_2)
	v_add_f64_e32 v[6:7], v[10:11], v[6:7]
	v_fma_f64 v[10:11], v[191:192], s[22:23], -v[209:210]
	v_fma_f64 v[112:113], v[191:192], s[22:23], v[209:210]
	v_mul_f64_e32 v[209:210], s[22:23], v[211:212]
	s_delay_alu instid0(VALU_DEP_3) | instskip(SKIP_1) | instid1(VALU_DEP_4)
	v_add_f64_e32 v[10:11], v[10:11], v[8:9]
	v_fma_f64 v[8:9], v[219:220], s[40:41], v[114:115]
	v_add_f64_e32 v[112:113], v[112:113], v[4:5]
	v_fma_f64 v[4:5], v[219:220], s[24:25], v[114:115]
	v_mul_f64_e32 v[114:115], s[46:47], v[207:208]
	s_delay_alu instid0(VALU_DEP_4)
	v_add_f64_e32 v[8:9], v[8:9], v[6:7]
	v_add_f64_e32 v[6:7], v[12:13], v[10:11]
	v_fma_f64 v[10:11], v[172:173], s[24:25], v[92:93]
	v_add_f64_e32 v[4:5], v[4:5], v[2:3]
	v_fma_f64 v[2:3], v[197:198], s[20:21], v[189:190]
	v_mul_f64_e32 v[189:190], s[14:15], v[201:202]
	v_fma_f64 v[92:93], v[172:173], s[40:41], v[92:93]
	v_add_f64_e32 v[10:11], v[10:11], v[30:31]
	v_mul_f64_e32 v[30:31], s[40:41], v[170:171]
	v_add_f64_e32 v[2:3], v[2:3], v[112:113]
	v_mul_f64_e32 v[112:113], s[30:31], v[187:188]
	s_delay_alu instid0(VALU_DEP_3) | instskip(SKIP_1) | instid1(VALU_DEP_2)
	v_fma_f64 v[12:13], v[102:103], s[20:21], v[30:31]
	v_fma_f64 v[30:31], v[102:103], s[20:21], -v[30:31]
	v_add_f64_e32 v[12:13], v[12:13], v[36:37]
	v_mul_f64_e32 v[36:37], s[12:13], v[178:179]
	s_delay_alu instid0(VALU_DEP_3) | instskip(NEXT) | instid1(VALU_DEP_2)
	v_add_f64_e32 v[30:31], v[30:31], v[32:33]
	v_fma_f64 v[24:25], v[185:186], s[48:49], v[36:37]
	v_fma_f64 v[32:33], v[185:186], s[16:17], v[36:37]
	v_fma_f64 v[36:37], v[197:198], s[22:23], -v[193:194]
	s_delay_alu instid0(VALU_DEP_3) | instskip(SKIP_1) | instid1(VALU_DEP_1)
	v_add_f64_e32 v[10:11], v[24:25], v[10:11]
	v_fma_f64 v[24:25], v[166:167], s[12:13], v[94:95]
	v_add_f64_e32 v[12:13], v[24:25], v[12:13]
	v_fma_f64 v[24:25], v[195:196], s[36:37], v[112:113]
	s_delay_alu instid0(VALU_DEP_1) | instskip(SKIP_1) | instid1(VALU_DEP_1)
	v_add_f64_e32 v[10:11], v[24:25], v[10:11]
	v_fma_f64 v[24:25], v[174:175], s[30:31], v[114:115]
	v_add_f64_e32 v[12:13], v[24:25], v[12:13]
	v_fma_f64 v[24:25], v[215:216], s[18:19], v[189:190]
	s_delay_alu instid0(VALU_DEP_1) | instskip(SKIP_1) | instid1(VALU_DEP_1)
	v_add_f64_e32 v[10:11], v[24:25], v[10:11]
	v_fma_f64 v[24:25], v[191:192], s[14:15], v[205:206]
	v_add_f64_e32 v[24:25], v[24:25], v[12:13]
	v_fma_f64 v[12:13], v[219:220], s[44:45], v[209:210]
	s_delay_alu instid0(VALU_DEP_1) | instskip(SKIP_2) | instid1(VALU_DEP_2)
	v_add_f64_e32 v[12:13], v[12:13], v[10:11]
	v_fma_f64 v[10:11], v[197:198], s[22:23], v[193:194]
	v_dual_mov_b32 v194, v125 :: v_dual_mov_b32 v193, v34
	v_add_f64_e32 v[10:11], v[10:11], v[24:25]
	v_mul_f64_e32 v[24:25], s[30:31], v[178:179]
	s_delay_alu instid0(VALU_DEP_1) | instskip(SKIP_2) | instid1(VALU_DEP_3)
	v_add_f64_e32 v[24:25], v[223:224], v[24:25]
	v_add_f64_e64 v[223:224], v[227:228], -v[235:236]
	v_mul_f64_e32 v[227:228], s[26:27], v[187:188]
	v_add_f64_e32 v[16:17], v[24:25], v[16:17]
	s_delay_alu instid0(VALU_DEP_3) | instskip(NEXT) | instid1(VALU_DEP_3)
	v_add_f64_e32 v[14:15], v[223:224], v[14:15]
	v_add_f64_e32 v[227:228], v[233:234], v[227:228]
	v_mul_f64_e32 v[233:234], s[26:27], v[174:175]
	v_mul_f64_e32 v[24:25], s[14:15], v[211:212]
	v_mul_f64_e32 v[223:224], s[14:15], v[197:198]
	v_add_f64_e32 v[14:15], v[225:226], v[14:15]
	v_add_f64_e32 v[16:17], v[227:228], v[16:17]
	v_add_f64_e64 v[229:230], v[233:234], -v[229:230]
	v_mul_f64_e32 v[233:234], s[20:21], v[201:202]
	v_add_f64_e32 v[24:25], v[251:252], v[24:25]
	v_add_f64_e64 v[223:224], v[223:224], -v[243:244]
	v_mul_f64_e32 v[225:226], s[14:15], v[187:188]
	v_mul_f64_e32 v[227:228], s[12:13], v[201:202]
	v_add_f64_e32 v[14:15], v[229:230], v[14:15]
	v_add_f64_e32 v[233:234], v[245:246], v[233:234]
	s_delay_alu instid0(VALU_DEP_4)
	v_add_f64_e32 v[164:165], v[164:165], v[225:226]
	v_mul_f64_e32 v[225:226], s[14:15], v[174:175]
	v_add_f64_e32 v[168:169], v[168:169], v[227:228]
	v_add_f64_e32 v[14:15], v[26:27], v[14:15]
	;; [unrolled: 1-line block ×3, first 2 shown]
	v_mul_f64_e32 v[26:27], s[30:31], v[162:163]
	v_add_f64_e64 v[225:226], v[225:226], -v[96:97]
	scratch_load_b64 v[96:97], off, off offset:300 th:TH_LOAD_LU ; 8-byte Folded Reload
	v_add_f64_e32 v[14:15], v[223:224], v[14:15]
	v_add_f64_e32 v[16:17], v[24:25], v[16:17]
	v_mul_f64_e32 v[24:25], s[22:23], v[178:179]
	v_mul_f64_e32 v[223:224], s[30:31], v[102:103]
	v_add_f64_e32 v[26:27], v[247:248], v[26:27]
	s_delay_alu instid0(VALU_DEP_3) | instskip(SKIP_1) | instid1(VALU_DEP_4)
	v_add_f64_e32 v[24:25], v[160:161], v[24:25]
	v_mul_f64_e32 v[160:161], s[22:23], v[166:167]
	v_add_f64_e64 v[223:224], v[223:224], -v[239:240]
	s_delay_alu instid0(VALU_DEP_4) | instskip(SKIP_1) | instid1(VALU_DEP_4)
	v_add_f64_e32 v[20:21], v[26:27], v[20:21]
	v_mul_f64_e32 v[26:27], s[12:13], v[191:192]
	v_add_f64_e64 v[160:161], v[160:161], -v[249:250]
	s_delay_alu instid0(VALU_DEP_4) | instskip(NEXT) | instid1(VALU_DEP_4)
	v_add_f64_e32 v[18:19], v[223:224], v[18:19]
	v_add_f64_e32 v[20:21], v[24:25], v[20:21]
	s_delay_alu instid0(VALU_DEP_4) | instskip(SKIP_1) | instid1(VALU_DEP_4)
	v_add_f64_e64 v[26:27], v[26:27], -v[180:181]
	v_mul_f64_e32 v[24:25], s[26:27], v[211:212]
	v_add_f64_e32 v[18:19], v[160:161], v[18:19]
	v_mul_f64_e32 v[160:161], s[38:39], v[170:171]
	v_add_f64_e32 v[20:21], v[164:165], v[20:21]
	s_delay_alu instid0(VALU_DEP_4)
	v_add_f64_e32 v[0:1], v[0:1], v[24:25]
	v_mul_f64_e32 v[24:25], s[26:27], v[197:198]
	v_mul_f64_e32 v[164:165], s[14:15], v[178:179]
	v_add_f64_e32 v[18:19], v[225:226], v[18:19]
	v_mov_b32_e32 v225, v35
	v_add_f64_e32 v[20:21], v[168:169], v[20:21]
	scratch_load_b64 v[34:35], off, off offset:308 th:TH_LOAD_LU ; 8-byte Folded Reload
	v_add_f64_e64 v[24:25], v[24:25], -v[100:101]
	v_fma_f64 v[168:169], v[185:186], s[42:43], v[164:165]
	v_add_f64_e32 v[18:19], v[26:27], v[18:19]
	v_fma_f64 v[26:27], v[102:103], s[26:27], -v[160:161]
	v_add_f64_e32 v[20:21], v[0:1], v[20:21]
	v_mul_f64_e32 v[0:1], s[26:27], v[162:163]
	s_delay_alu instid0(VALU_DEP_4) | instskip(NEXT) | instid1(VALU_DEP_4)
	v_add_f64_e32 v[18:19], v[24:25], v[18:19]
	v_add_f64_e32 v[26:27], v[26:27], v[28:29]
	scratch_load_b64 v[28:29], off, off offset:316 th:TH_LOAD_LU ; 8-byte Folded Reload
	v_fma_f64 v[24:25], v[172:173], s[38:39], v[0:1]
	v_fma_f64 v[0:1], v[172:173], s[34:35], v[0:1]
	s_delay_alu instid0(VALU_DEP_2) | instskip(NEXT) | instid1(VALU_DEP_1)
	v_add_f64_e32 v[24:25], v[24:25], v[176:177]
	v_add_f64_e32 v[24:25], v[168:169], v[24:25]
	v_mul_f64_e32 v[168:169], s[42:43], v[182:183]
	s_delay_alu instid0(VALU_DEP_1) | instskip(NEXT) | instid1(VALU_DEP_1)
	v_fma_f64 v[170:171], v[166:167], s[14:15], -v[168:169]
	v_add_f64_e32 v[26:27], v[170:171], v[26:27]
	v_mul_f64_e32 v[170:171], s[20:21], v[187:188]
	s_delay_alu instid0(VALU_DEP_1) | instskip(NEXT) | instid1(VALU_DEP_1)
	v_fma_f64 v[176:177], v[195:196], s[24:25], v[170:171]
	v_add_f64_e32 v[24:25], v[176:177], v[24:25]
	v_mul_f64_e32 v[176:177], s[24:25], v[207:208]
	s_wait_loadcnt 0x1
	v_add_f64_e32 v[0:1], v[0:1], v[34:35]
	v_fma_f64 v[34:35], v[102:103], s[26:27], v[160:161]
	s_delay_alu instid0(VALU_DEP_3) | instskip(NEXT) | instid1(VALU_DEP_2)
	v_fma_f64 v[180:181], v[174:175], s[20:21], -v[176:177]
	v_add_f64_e32 v[34:35], v[34:35], v[96:97]
	s_delay_alu instid0(VALU_DEP_2) | instskip(SKIP_3) | instid1(VALU_DEP_2)
	v_add_f64_e32 v[26:27], v[180:181], v[26:27]
	v_mul_f64_e32 v[180:181], s[30:31], v[201:202]
	s_wait_loadcnt 0x0
	v_add_f64_e32 v[28:29], v[92:93], v[28:29]
	v_fma_f64 v[182:183], v[215:216], s[46:47], v[180:181]
	s_delay_alu instid0(VALU_DEP_2) | instskip(SKIP_1) | instid1(VALU_DEP_3)
	v_add_f64_e32 v[28:29], v[32:33], v[28:29]
	v_fma_f64 v[32:33], v[166:167], s[12:13], -v[94:95]
	v_add_f64_e32 v[24:25], v[182:183], v[24:25]
	v_mul_f64_e32 v[182:183], s[46:47], v[217:218]
	v_mul_f64_e32 v[217:218], s[48:49], v[221:222]
	;; [unrolled: 1-line block ×3, first 2 shown]
	v_add_f64_e32 v[30:31], v[32:33], v[30:31]
	v_fma_f64 v[32:33], v[195:196], s[46:47], v[112:113]
	v_fma_f64 v[207:208], v[191:192], s[30:31], -v[182:183]
	s_delay_alu instid0(VALU_DEP_2) | instskip(SKIP_1) | instid1(VALU_DEP_3)
	v_add_f64_e32 v[28:29], v[32:33], v[28:29]
	v_fma_f64 v[32:33], v[174:175], s[30:31], -v[114:115]
	v_add_f64_e32 v[207:208], v[207:208], v[26:27]
	v_fma_f64 v[26:27], v[219:220], s[48:49], v[221:222]
	s_delay_alu instid0(VALU_DEP_3)
	v_add_f64_e32 v[30:31], v[32:33], v[30:31]
	v_fma_f64 v[32:33], v[215:216], s[42:43], v[189:190]
	v_dual_mov_b32 v190, v121 :: v_dual_mov_b32 v189, v22
	v_mov_b32_e32 v22, v120
	v_add_f64_e32 v[26:27], v[26:27], v[24:25]
	v_fma_f64 v[24:25], v[197:198], s[12:13], -v[217:218]
	v_add_f64_e32 v[28:29], v[32:33], v[28:29]
	v_fma_f64 v[32:33], v[191:192], s[14:15], -v[205:206]
	s_delay_alu instid0(VALU_DEP_3) | instskip(NEXT) | instid1(VALU_DEP_2)
	v_add_f64_e32 v[24:25], v[24:25], v[207:208]
	v_add_f64_e32 v[30:31], v[32:33], v[30:31]
	v_fma_f64 v[32:33], v[219:220], s[28:29], v[209:210]
	s_delay_alu instid0(VALU_DEP_2) | instskip(NEXT) | instid1(VALU_DEP_2)
	v_add_f64_e32 v[92:93], v[36:37], v[30:31]
	v_add_f64_e32 v[94:95], v[32:33], v[28:29]
	v_fma_f64 v[28:29], v[185:186], s[18:19], v[164:165]
	v_fma_f64 v[30:31], v[195:196], s[40:41], v[170:171]
	;; [unrolled: 1-line block ×4, first 2 shown]
	s_delay_alu instid0(VALU_DEP_4) | instskip(SKIP_1) | instid1(VALU_DEP_2)
	v_add_f64_e32 v[0:1], v[28:29], v[0:1]
	v_fma_f64 v[28:29], v[166:167], s[14:15], v[168:169]
	v_add_f64_e32 v[0:1], v[30:31], v[0:1]
	s_delay_alu instid0(VALU_DEP_2)
	v_add_f64_e32 v[28:29], v[28:29], v[34:35]
	v_fma_f64 v[30:31], v[174:175], s[20:21], v[176:177]
	s_clause 0x2
	scratch_load_b32 v177, off, off offset:216
	scratch_load_b32 v176, off, off offset:212
	scratch_load_b64 v[34:35], off, off offset:284 th:TH_LOAD_LU
	v_add_f64_e32 v[0:1], v[32:33], v[0:1]
	scratch_load_b64 v[32:33], off, off offset:188 th:TH_LOAD_LU ; 8-byte Folded Reload
	v_add_f64_e32 v[28:29], v[30:31], v[28:29]
	v_fma_f64 v[30:31], v[191:192], s[30:31], v[182:183]
	v_add_f64_e32 v[170:171], v[36:37], v[0:1]
	scratch_load_b64 v[36:37], off, off offset:196 th:TH_LOAD_LU ; 8-byte Folded Reload
	v_mul_f64_e32 v[0:1], s[12:13], v[162:163]
	v_add_f64_e32 v[28:29], v[30:31], v[28:29]
	v_fma_f64 v[30:31], v[197:198], s[12:13], v[217:218]
	s_delay_alu instid0(VALU_DEP_3) | instskip(NEXT) | instid1(VALU_DEP_2)
	v_add_f64_e32 v[0:1], v[126:127], v[0:1]
	v_add_f64_e32 v[168:169], v[30:31], v[28:29]
	scratch_load_b64 v[30:31], off, off offset:276 th:TH_LOAD_LU ; 8-byte Folded Reload
	v_mul_f64_e32 v[28:29], s[12:13], v[102:103]
	s_wait_loadcnt 0x3
	v_add_f64_e32 v[0:1], v[0:1], v[34:35]
	scratch_load_b64 v[34:35], off, off offset:292 th:TH_LOAD_LU ; 8-byte Folded Reload
	s_wait_loadcnt 0x1
	v_add_f64_e64 v[28:29], v[28:29], -v[30:31]
	v_mul_f64_e32 v[30:31], s[20:21], v[178:179]
	s_delay_alu instid0(VALU_DEP_1) | instskip(SKIP_1) | instid1(VALU_DEP_2)
	v_add_f64_e32 v[30:31], v[32:33], v[30:31]
	v_mul_f64_e32 v[32:33], s[20:21], v[166:167]
	v_add_f64_e32 v[0:1], v[30:31], v[0:1]
	s_delay_alu instid0(VALU_DEP_2) | instskip(SKIP_1) | instid1(VALU_DEP_1)
	v_add_f64_e64 v[32:33], v[32:33], -v[203:204]
	v_mul_f64_e32 v[30:31], s[26:27], v[201:202]
	v_add_f64_e32 v[30:31], v[213:214], v[30:31]
	s_wait_loadcnt 0x0
	v_add_f64_e32 v[28:29], v[28:29], v[34:35]
	v_mul_f64_e32 v[34:35], s[22:23], v[187:188]
	s_delay_alu instid0(VALU_DEP_2) | instskip(NEXT) | instid1(VALU_DEP_2)
	v_add_f64_e32 v[28:29], v[32:33], v[28:29]
	v_add_f64_e32 v[34:35], v[36:37], v[34:35]
	v_mul_f64_e32 v[36:37], s[22:23], v[174:175]
	v_mul_f64_e32 v[32:33], s[26:27], v[191:192]
	s_delay_alu instid0(VALU_DEP_3) | instskip(NEXT) | instid1(VALU_DEP_3)
	v_add_f64_e32 v[0:1], v[34:35], v[0:1]
	v_add_f64_e64 v[36:37], v[36:37], -v[38:39]
	s_delay_alu instid0(VALU_DEP_3) | instskip(SKIP_1) | instid1(VALU_DEP_4)
	v_add_f64_e64 v[32:33], v[32:33], -v[199:200]
	v_mul_f64_e32 v[34:35], s[30:31], v[211:212]
	v_add_f64_e32 v[0:1], v[30:31], v[0:1]
	s_delay_alu instid0(VALU_DEP_4) | instskip(SKIP_1) | instid1(VALU_DEP_4)
	v_add_f64_e32 v[28:29], v[36:37], v[28:29]
	v_mul_f64_e32 v[36:37], s[30:31], v[197:198]
	v_add_f64_e32 v[34:35], v[231:232], v[34:35]
	s_delay_alu instid0(VALU_DEP_3) | instskip(NEXT) | instid1(VALU_DEP_3)
	v_add_f64_e32 v[28:29], v[32:33], v[28:29]
	v_add_f64_e64 v[36:37], v[36:37], -v[241:242]
	s_delay_alu instid0(VALU_DEP_3)
	v_add_f64_e32 v[162:163], v[34:35], v[0:1]
	scratch_load_b64 v[0:1], off, off offset:260 th:TH_LOAD_LU ; 8-byte Folded Reload
	v_add_f64_e32 v[160:161], v[36:37], v[28:29]
	s_clause 0x1
	scratch_load_b64 v[28:29], off, off offset:252 th:TH_LOAD_LU
	scratch_load_b64 v[30:31], off, off offset:268 th:TH_LOAD_LU
	s_wait_loadcnt 0x2
	v_add_f64_e32 v[0:1], v[0:1], v[132:133]
	s_wait_loadcnt 0x0
	v_add_f64_e32 v[28:29], v[30:31], v[28:29]
	scratch_load_b64 v[30:31], off, off offset:204 th:TH_LOAD_LU ; 8-byte Folded Reload
	v_add_f64_e32 v[28:29], v[28:29], v[130:131]
	s_delay_alu instid0(VALU_DEP_1) | instskip(NEXT) | instid1(VALU_DEP_1)
	v_add_f64_e32 v[28:29], v[28:29], v[150:151]
	v_add_f64_e32 v[28:29], v[28:29], v[154:155]
	s_delay_alu instid0(VALU_DEP_1) | instskip(NEXT) | instid1(VALU_DEP_1)
	v_add_f64_e32 v[28:29], v[28:29], v[110:111]
	v_add_f64_e32 v[28:29], v[28:29], v[253:254]
	s_delay_alu instid0(VALU_DEP_1) | instskip(NEXT) | instid1(VALU_DEP_1)
	v_add_f64_e32 v[28:29], v[28:29], v[158:159]
	v_add_f64_e32 v[28:29], v[28:29], v[146:147]
	s_delay_alu instid0(VALU_DEP_1) | instskip(SKIP_4) | instid1(VALU_DEP_1)
	v_add_f64_e32 v[28:29], v[28:29], v[122:123]
	s_wait_loadcnt 0x0
	v_add_f64_e32 v[0:1], v[0:1], v[30:31]
	scratch_load_b64 v[30:31], off, off offset:236 th:TH_LOAD_LU ; 8-byte Folded Reload
	v_add_f64_e32 v[0:1], v[0:1], v[152:153]
	v_add_f64_e32 v[0:1], v[0:1], v[156:157]
	s_delay_alu instid0(VALU_DEP_1) | instskip(NEXT) | instid1(VALU_DEP_1)
	v_add_f64_e32 v[0:1], v[0:1], v[98:99]
	v_add_f64_e32 v[0:1], v[0:1], v[128:129]
	s_delay_alu instid0(VALU_DEP_1) | instskip(NEXT) | instid1(VALU_DEP_1)
	v_add_f64_e32 v[0:1], v[0:1], v[108:109]
	v_add_f64_e32 v[0:1], v[0:1], v[148:149]
	s_delay_alu instid0(VALU_DEP_1) | instskip(SKIP_1) | instid1(VALU_DEP_1)
	v_add_f64_e32 v[0:1], v[0:1], v[134:135]
	s_wait_loadcnt 0x0
	v_add_f64_e32 v[0:1], v[0:1], v[30:31]
	scratch_load_b64 v[30:31], off, off offset:244 th:TH_LOAD_LU ; 8-byte Folded Reload
	s_wait_loadcnt 0x0
	v_add_f64_e32 v[28:29], v[28:29], v[30:31]
	scratch_load_b64 v[30:31], off, off offset:220 th:TH_LOAD_LU ; 8-byte Folded Reload
	;; [unrolled: 3-line block ×3, first 2 shown]
	s_wait_loadcnt 0x0
	v_add_f64_e32 v[96:97], v[28:29], v[0:1]
	s_clause 0x1
	scratch_load_b32 v0, off, off offset:164
	scratch_load_b32 v1, off, off offset:160
	s_wait_loadcnt 0x1
	v_mul_u32_u24_e32 v0, 0x4e, v0
	s_wait_loadcnt 0x0
	s_delay_alu instid0(VALU_DEP_1) | instskip(NEXT) | instid1(VALU_DEP_1)
	v_add_nc_u32_e32 v0, v0, v1
	v_lshl_add_u32 v0, v0, 4, v189
	ds_store_b128 v0, v[14:17] offset:192
	ds_store_b128 v0, v[18:21] offset:288
	;; [unrolled: 1-line block ×11, first 2 shown]
	ds_store_b128 v0, v[96:99]
	ds_store_b128 v0, v[116:119] offset:1152
.LBB0_9:
	s_wait_alu 0xfffe
	s_or_b32 exec_lo, exec_lo, s1
	v_lshlrev_b32_e32 v0, 6, v22
	global_wb scope:SCOPE_SE
	s_wait_storecnt_dscnt 0x0
	s_barrier_signal -1
	s_barrier_wait -1
	global_inv scope:SCOPE_SE
	s_clause 0x2
	global_load_b128 v[92:95], v0, s[10:11] offset:1216
	global_load_b128 v[96:99], v0, s[10:11] offset:1232
	;; [unrolled: 1-line block ×3, first 2 shown]
	ds_load_b128 v[1:4], v23 offset:2496
	ds_load_b128 v[5:8], v23 offset:3744
	ds_load_b128 v[9:12], v23 offset:4992
	ds_load_b128 v[13:16], v23 offset:6240
	global_load_b128 v[108:111], v0, s[10:11] offset:1264
	s_mov_b32 s16, 0x134454ff
	s_mov_b32 s17, 0x3fee6f0e
	;; [unrolled: 1-line block ×3, first 2 shown]
	s_wait_alu 0xfffe
	s_mov_b32 s18, s16
	s_mov_b32 s12, 0x4755a5e
	;; [unrolled: 1-line block ×4, first 2 shown]
	s_wait_alu 0xfffe
	s_mov_b32 s14, s12
	s_mov_b32 s20, 0x372fe950
	;; [unrolled: 1-line block ×3, first 2 shown]
	v_add_co_u32 v0, s1, s10, v0
	s_add_nc_u64 s[8:9], s[8:9], 0x30c0
	s_wait_loadcnt_dscnt 0x303
	v_mul_f64_e32 v[17:18], v[3:4], v[94:95]
	v_mul_f64_e32 v[19:20], v[1:2], v[94:95]
	s_delay_alu instid0(VALU_DEP_2) | instskip(NEXT) | instid1(VALU_DEP_2)
	v_fma_f64 v[24:25], v[1:2], v[92:93], -v[17:18]
	v_fma_f64 v[26:27], v[3:4], v[92:93], v[19:20]
	s_wait_loadcnt_dscnt 0x201
	v_mul_f64_e32 v[1:2], v[11:12], v[98:99]
	v_mul_f64_e32 v[3:4], v[9:10], v[98:99]
	s_delay_alu instid0(VALU_DEP_2) | instskip(NEXT) | instid1(VALU_DEP_2)
	v_fma_f64 v[28:29], v[9:10], v[96:97], -v[1:2]
	v_fma_f64 v[30:31], v[11:12], v[96:97], v[3:4]
	ds_load_b128 v[1:4], v23 offset:7488
	ds_load_b128 v[9:12], v23 offset:8736
	s_wait_loadcnt_dscnt 0x101
	v_mul_f64_e32 v[17:18], v[3:4], v[102:103]
	s_delay_alu instid0(VALU_DEP_1) | instskip(SKIP_1) | instid1(VALU_DEP_2)
	v_fma_f64 v[32:33], v[1:2], v[100:101], -v[17:18]
	v_mul_f64_e32 v[1:2], v[1:2], v[102:103]
	v_add_f64_e64 v[122:123], v[28:29], -v[32:33]
	s_delay_alu instid0(VALU_DEP_2)
	v_fma_f64 v[34:35], v[3:4], v[100:101], v[1:2]
	ds_load_b128 v[1:4], v23 offset:9984
	ds_load_b128 v[17:20], v23 offset:11232
	s_wait_loadcnt_dscnt 0x1
	v_mul_f64_e32 v[36:37], v[3:4], v[110:111]
	v_add_f64_e64 v[114:115], v[30:31], -v[34:35]
	s_delay_alu instid0(VALU_DEP_2) | instskip(SKIP_1) | instid1(VALU_DEP_2)
	v_fma_f64 v[36:37], v[1:2], v[108:109], -v[36:37]
	v_mul_f64_e32 v[1:2], v[1:2], v[110:111]
	v_add_f64_e64 v[120:121], v[24:25], -v[36:37]
	s_delay_alu instid0(VALU_DEP_2) | instskip(SKIP_2) | instid1(VALU_DEP_3)
	v_fma_f64 v[38:39], v[3:4], v[108:109], v[1:2]
	v_mul_f64_e32 v[1:2], v[15:16], v[98:99]
	v_add_f64_e64 v[3:4], v[36:37], -v[32:33]
	v_add_f64_e64 v[112:113], v[26:27], -v[38:39]
	s_delay_alu instid0(VALU_DEP_3) | instskip(SKIP_1) | instid1(VALU_DEP_1)
	v_fma_f64 v[124:125], v[13:14], v[96:97], -v[1:2]
	v_mul_f64_e32 v[1:2], v[13:14], v[98:99]
	v_fma_f64 v[126:127], v[15:16], v[96:97], v[1:2]
	v_mul_f64_e32 v[1:2], v[11:12], v[102:103]
	s_delay_alu instid0(VALU_DEP_1) | instskip(SKIP_2) | instid1(VALU_DEP_3)
	v_fma_f64 v[128:129], v[9:10], v[100:101], -v[1:2]
	v_mul_f64_e32 v[1:2], v[9:10], v[102:103]
	v_add_f64_e32 v[9:10], v[28:29], v[32:33]
	v_add_f64_e64 v[150:151], v[124:125], -v[128:129]
	s_delay_alu instid0(VALU_DEP_3) | instskip(SKIP_1) | instid1(VALU_DEP_1)
	v_fma_f64 v[130:131], v[11:12], v[100:101], v[1:2]
	v_mul_f64_e32 v[1:2], v[7:8], v[94:95]
	v_fma_f64 v[132:133], v[5:6], v[92:93], -v[1:2]
	v_mul_f64_e32 v[1:2], v[5:6], v[94:95]
	s_delay_alu instid0(VALU_DEP_1) | instskip(SKIP_2) | instid1(VALU_DEP_1)
	v_fma_f64 v[134:135], v[7:8], v[92:93], v[1:2]
	s_wait_dscnt 0x0
	v_mul_f64_e32 v[1:2], v[19:20], v[110:111]
	v_fma_f64 v[146:147], v[17:18], v[108:109], -v[1:2]
	v_mul_f64_e32 v[1:2], v[17:18], v[110:111]
	s_delay_alu instid0(VALU_DEP_2) | instskip(NEXT) | instid1(VALU_DEP_2)
	v_add_f64_e64 v[152:153], v[132:133], -v[146:147]
	v_fma_f64 v[148:149], v[19:20], v[108:109], v[1:2]
	v_add_f64_e64 v[1:2], v[24:25], -v[28:29]
	s_delay_alu instid0(VALU_DEP_1) | instskip(SKIP_2) | instid1(VALU_DEP_1)
	v_add_f64_e32 v[13:14], v[1:2], v[3:4]
	v_add_f64_e64 v[1:2], v[26:27], -v[30:31]
	v_add_f64_e64 v[3:4], v[38:39], -v[34:35]
	v_add_f64_e32 v[15:16], v[1:2], v[3:4]
	ds_load_b128 v[1:4], v23
	ds_load_b128 v[5:8], v23 offset:1248
	global_wb scope:SCOPE_SE
	s_wait_dscnt 0x0
	s_barrier_signal -1
	s_barrier_wait -1
	global_inv scope:SCOPE_SE
	v_fma_f64 v[17:18], v[9:10], -0.5, v[1:2]
	v_add_f64_e32 v[9:10], v[30:31], v[34:35]
	s_delay_alu instid0(VALU_DEP_1) | instskip(NEXT) | instid1(VALU_DEP_3)
	v_fma_f64 v[19:20], v[9:10], -0.5, v[3:4]
	v_fma_f64 v[9:10], v[112:113], s[16:17], v[17:18]
	v_fma_f64 v[17:18], v[112:113], s[18:19], v[17:18]
	s_delay_alu instid0(VALU_DEP_3) | instskip(NEXT) | instid1(VALU_DEP_3)
	v_fma_f64 v[11:12], v[120:121], s[18:19], v[19:20]
	v_fma_f64 v[9:10], v[114:115], s[12:13], v[9:10]
	;; [unrolled: 1-line block ×3, first 2 shown]
	s_wait_alu 0xfffe
	s_delay_alu instid0(VALU_DEP_4) | instskip(NEXT) | instid1(VALU_DEP_4)
	v_fma_f64 v[17:18], v[114:115], s[14:15], v[17:18]
	v_fma_f64 v[11:12], v[122:123], s[14:15], v[11:12]
	s_delay_alu instid0(VALU_DEP_4) | instskip(NEXT) | instid1(VALU_DEP_4)
	v_fma_f64 v[9:10], v[13:14], s[20:21], v[9:10]
	v_fma_f64 v[19:20], v[122:123], s[12:13], v[19:20]
	s_delay_alu instid0(VALU_DEP_4) | instskip(SKIP_2) | instid1(VALU_DEP_4)
	v_fma_f64 v[13:14], v[13:14], s[20:21], v[17:18]
	v_add_f64_e32 v[17:18], v[24:25], v[36:37]
	v_fma_f64 v[11:12], v[15:16], s[20:21], v[11:12]
	v_fma_f64 v[15:16], v[15:16], s[20:21], v[19:20]
	v_add_f64_e32 v[19:20], v[26:27], v[38:39]
	s_delay_alu instid0(VALU_DEP_4) | instskip(SKIP_2) | instid1(VALU_DEP_4)
	v_fma_f64 v[17:18], v[17:18], -0.5, v[1:2]
	v_add_f64_e32 v[1:2], v[1:2], v[24:25]
	v_add_f64_e64 v[24:25], v[28:29], -v[24:25]
	v_fma_f64 v[19:20], v[19:20], -0.5, v[3:4]
	v_add_f64_e32 v[3:4], v[3:4], v[26:27]
	s_delay_alu instid0(VALU_DEP_4) | instskip(SKIP_2) | instid1(VALU_DEP_4)
	v_add_f64_e32 v[1:2], v[1:2], v[28:29]
	v_add_f64_e64 v[26:27], v[30:31], -v[26:27]
	v_add_f64_e64 v[28:29], v[32:33], -v[36:37]
	v_add_f64_e32 v[3:4], v[3:4], v[30:31]
	s_delay_alu instid0(VALU_DEP_4)
	v_add_f64_e32 v[1:2], v[1:2], v[32:33]
	v_add_f64_e64 v[30:31], v[34:35], -v[38:39]
	v_fma_f64 v[32:33], v[114:115], s[18:19], v[17:18]
	v_fma_f64 v[17:18], v[114:115], s[16:17], v[17:18]
	v_add_f64_e32 v[24:25], v[24:25], v[28:29]
	v_add_f64_e32 v[3:4], v[3:4], v[34:35]
	v_fma_f64 v[34:35], v[122:123], s[16:17], v[19:20]
	v_add_f64_e32 v[26:27], v[26:27], v[30:31]
	v_fma_f64 v[28:29], v[112:113], s[12:13], v[32:33]
	v_fma_f64 v[30:31], v[112:113], s[14:15], v[17:18]
	;; [unrolled: 1-line block ×3, first 2 shown]
	v_add_f64_e32 v[1:2], v[1:2], v[36:37]
	v_add_f64_e64 v[36:37], v[126:127], -v[130:131]
	v_add_f64_e32 v[3:4], v[3:4], v[38:39]
	v_fma_f64 v[32:33], v[120:121], s[14:15], v[34:35]
	v_add_f64_e64 v[38:39], v[134:135], -v[148:149]
	v_fma_f64 v[17:18], v[24:25], s[20:21], v[28:29]
	v_fma_f64 v[24:25], v[24:25], s[20:21], v[30:31]
	v_add_f64_e64 v[28:29], v[124:125], -v[132:133]
	v_add_f64_e64 v[30:31], v[128:129], -v[146:147]
	v_fma_f64 v[34:35], v[120:121], s[12:13], v[19:20]
	v_fma_f64 v[19:20], v[26:27], s[20:21], v[32:33]
	v_add_f64_e64 v[32:33], v[130:131], -v[148:149]
	s_delay_alu instid0(VALU_DEP_4) | instskip(SKIP_3) | instid1(VALU_DEP_3)
	v_add_f64_e32 v[28:29], v[28:29], v[30:31]
	v_add_f64_e64 v[30:31], v[126:127], -v[134:135]
	v_fma_f64 v[26:27], v[26:27], s[20:21], v[34:35]
	v_add_f64_e32 v[34:35], v[134:135], v[148:149]
	v_add_f64_e32 v[30:31], v[30:31], v[32:33]
	;; [unrolled: 1-line block ×3, first 2 shown]
	s_delay_alu instid0(VALU_DEP_3) | instskip(NEXT) | instid1(VALU_DEP_2)
	v_fma_f64 v[34:35], v[34:35], -0.5, v[7:8]
	v_fma_f64 v[32:33], v[32:33], -0.5, v[5:6]
	s_delay_alu instid0(VALU_DEP_2) | instskip(SKIP_1) | instid1(VALU_DEP_3)
	v_fma_f64 v[114:115], v[150:151], s[16:17], v[34:35]
	v_fma_f64 v[34:35], v[150:151], s[18:19], v[34:35]
	;; [unrolled: 1-line block ×4, first 2 shown]
	s_delay_alu instid0(VALU_DEP_4) | instskip(NEXT) | instid1(VALU_DEP_4)
	v_fma_f64 v[114:115], v[152:153], s[14:15], v[114:115]
	v_fma_f64 v[34:35], v[152:153], s[12:13], v[34:35]
	s_delay_alu instid0(VALU_DEP_4) | instskip(NEXT) | instid1(VALU_DEP_4)
	v_fma_f64 v[112:113], v[38:39], s[12:13], v[112:113]
	v_fma_f64 v[32:33], v[38:39], s[14:15], v[32:33]
	;; [unrolled: 3-line block ×3, first 2 shown]
	v_add_f64_e32 v[30:31], v[126:127], v[130:131]
	v_add_f64_e64 v[34:35], v[134:135], -v[126:127]
	v_fma_f64 v[112:113], v[28:29], s[20:21], v[112:113]
	v_fma_f64 v[120:121], v[28:29], s[20:21], v[32:33]
	v_add_f64_e32 v[28:29], v[124:125], v[128:129]
	v_add_f64_e64 v[32:33], v[132:133], -v[124:125]
	v_fma_f64 v[30:31], v[30:31], -0.5, v[7:8]
	v_add_f64_e32 v[7:8], v[7:8], v[134:135]
	s_delay_alu instid0(VALU_DEP_4) | instskip(SKIP_1) | instid1(VALU_DEP_3)
	v_fma_f64 v[28:29], v[28:29], -0.5, v[5:6]
	v_add_f64_e32 v[5:6], v[5:6], v[132:133]
	v_add_f64_e32 v[7:8], v[7:8], v[126:127]
	v_add_f64_e64 v[126:127], v[148:149], -v[130:131]
	s_delay_alu instid0(VALU_DEP_3) | instskip(SKIP_1) | instid1(VALU_DEP_4)
	v_add_f64_e32 v[5:6], v[5:6], v[124:125]
	v_add_f64_e64 v[124:125], v[146:147], -v[128:129]
	v_add_f64_e32 v[7:8], v[7:8], v[130:131]
	s_delay_alu instid0(VALU_DEP_4) | instskip(NEXT) | instid1(VALU_DEP_4)
	v_add_f64_e32 v[34:35], v[34:35], v[126:127]
	v_add_f64_e32 v[5:6], v[5:6], v[128:129]
	v_fma_f64 v[128:129], v[38:39], s[16:17], v[28:29]
	v_fma_f64 v[28:29], v[38:39], s[18:19], v[28:29]
	;; [unrolled: 1-line block ×4, first 2 shown]
	v_add_f64_e32 v[32:33], v[32:33], v[124:125]
	v_add_f64_e32 v[7:8], v[7:8], v[148:149]
	;; [unrolled: 1-line block ×3, first 2 shown]
	v_fma_f64 v[124:125], v[36:37], s[12:13], v[128:129]
	v_fma_f64 v[28:29], v[36:37], s[14:15], v[28:29]
	;; [unrolled: 1-line block ×4, first 2 shown]
	s_delay_alu instid0(VALU_DEP_4) | instskip(NEXT) | instid1(VALU_DEP_4)
	v_fma_f64 v[124:125], v[32:33], s[20:21], v[124:125]
	v_fma_f64 v[128:129], v[32:33], s[20:21], v[28:29]
	s_delay_alu instid0(VALU_DEP_4) | instskip(NEXT) | instid1(VALU_DEP_4)
	v_fma_f64 v[126:127], v[34:35], s[20:21], v[36:37]
	v_fma_f64 v[130:131], v[34:35], s[20:21], v[30:31]
	ds_store_b128 v23, v[1:4]
	ds_store_b128 v23, v[9:12] offset:1248
	ds_store_b128 v23, v[17:20] offset:2496
	;; [unrolled: 1-line block ×6, first 2 shown]
	v_mul_i32_i24_e32 v1, 0xffffffd0, v22
	v_mul_hi_i32_i24_e32 v2, 0xffffffd0, v22
	v_add_co_ci_u32_e64 v3, null, s11, 0, s1
	ds_store_b128 v23, v[112:115] offset:8736
	ds_store_b128 v23, v[120:123] offset:9984
	;; [unrolled: 1-line block ×3, first 2 shown]
	v_add_co_u32 v12, s1, v0, v1
	s_wait_alu 0xf1ff
	v_add_co_ci_u32_e64 v13, s1, v3, v2, s1
	global_wb scope:SCOPE_SE
	s_wait_dscnt 0x0
	s_barrier_signal -1
	s_barrier_wait -1
	global_inv scope:SCOPE_SE
	s_clause 0x1
	global_load_b128 v[112:115], v[12:13], off offset:6208
	global_load_b128 v[120:123], v[12:13], off offset:7456
	ds_load_b128 v[0:3], v23 offset:6240
	ds_load_b128 v[4:7], v23 offset:4992
	s_wait_loadcnt_dscnt 0x101
	v_mul_f64_e32 v[8:9], v[2:3], v[114:115]
	s_delay_alu instid0(VALU_DEP_1) | instskip(SKIP_1) | instid1(VALU_DEP_1)
	v_fma_f64 v[14:15], v[0:1], v[112:113], -v[8:9]
	v_mul_f64_e32 v[0:1], v[0:1], v[114:115]
	v_fma_f64 v[16:17], v[2:3], v[112:113], v[0:1]
	ds_load_b128 v[0:3], v23 offset:7488
	ds_load_b128 v[8:11], v23 offset:8736
	s_clause 0x1
	global_load_b128 v[128:131], v[12:13], off offset:8704
	global_load_b128 v[124:127], v[12:13], off offset:9952
	s_wait_loadcnt_dscnt 0x201
	v_mul_f64_e32 v[18:19], v[2:3], v[122:123]
	s_delay_alu instid0(VALU_DEP_1) | instskip(SKIP_1) | instid1(VALU_DEP_1)
	v_fma_f64 v[18:19], v[0:1], v[120:121], -v[18:19]
	v_mul_f64_e32 v[0:1], v[0:1], v[122:123]
	v_fma_f64 v[20:21], v[2:3], v[120:121], v[0:1]
	s_wait_loadcnt_dscnt 0x100
	v_mul_f64_e32 v[0:1], v[10:11], v[130:131]
	s_delay_alu instid0(VALU_DEP_1) | instskip(SKIP_1) | instid1(VALU_DEP_1)
	v_fma_f64 v[28:29], v[8:9], v[128:129], -v[0:1]
	v_mul_f64_e32 v[0:1], v[8:9], v[130:131]
	v_fma_f64 v[30:31], v[10:11], v[128:129], v[0:1]
	ds_load_b128 v[0:3], v23 offset:9984
	ds_load_b128 v[8:11], v23 offset:11232
	global_load_b128 v[132:135], v[12:13], off offset:11200
	s_wait_loadcnt_dscnt 0x101
	v_mul_f64_e32 v[24:25], v[2:3], v[126:127]
	s_delay_alu instid0(VALU_DEP_1) | instskip(SKIP_1) | instid1(VALU_DEP_1)
	v_fma_f64 v[32:33], v[0:1], v[124:125], -v[24:25]
	v_mul_f64_e32 v[0:1], v[0:1], v[126:127]
	v_fma_f64 v[34:35], v[2:3], v[124:125], v[0:1]
	s_wait_loadcnt_dscnt 0x0
	v_mul_f64_e32 v[0:1], v[10:11], v[134:135]
	s_delay_alu instid0(VALU_DEP_1) | instskip(SKIP_1) | instid1(VALU_DEP_2)
	v_fma_f64 v[36:37], v[8:9], v[132:133], -v[0:1]
	v_mul_f64_e32 v[0:1], v[8:9], v[134:135]
	v_add_f64_e64 v[158:159], v[4:5], -v[36:37]
	s_delay_alu instid0(VALU_DEP_2)
	v_fma_f64 v[38:39], v[10:11], v[132:133], v[0:1]
	ds_load_b128 v[0:3], v23
	ds_load_b128 v[8:11], v23 offset:1248
	ds_load_b128 v[24:27], v23 offset:2496
	;; [unrolled: 1-line block ×3, first 2 shown]
	s_wait_dscnt 0x3
	v_add_f64_e64 v[12:13], v[0:1], -v[14:15]
	v_add_f64_e64 v[14:15], v[2:3], -v[16:17]
	s_wait_dscnt 0x2
	v_add_f64_e64 v[16:17], v[8:9], -v[18:19]
	v_add_f64_e64 v[18:19], v[10:11], -v[20:21]
	s_wait_dscnt 0x1
	v_add_f64_e64 v[150:151], v[24:25], -v[28:29]
	v_add_f64_e64 v[152:153], v[26:27], -v[30:31]
	s_wait_dscnt 0x0
	v_add_f64_e64 v[154:155], v[146:147], -v[32:33]
	v_add_f64_e64 v[156:157], v[148:149], -v[34:35]
	v_lshlrev_b32_e32 v21, 4, v22
	v_fma_f64 v[4:5], v[4:5], 2.0, -v[158:159]
	v_add_f64_e64 v[160:161], v[6:7], -v[38:39]
	v_fma_f64 v[0:1], v[0:1], 2.0, -v[12:13]
	v_fma_f64 v[2:3], v[2:3], 2.0, -v[14:15]
	;; [unrolled: 1-line block ×4, first 2 shown]
	ds_store_b128 v23, v[0:3]
	ds_store_b128 v23, v[8:11] offset:1248
	scratch_load_b32 v0, off, off offset:176 th:TH_LOAD_LU ; 4-byte Folded Reload
	v_fma_f64 v[24:25], v[24:25], 2.0, -v[150:151]
	v_fma_f64 v[26:27], v[26:27], 2.0, -v[152:153]
	;; [unrolled: 1-line block ×5, first 2 shown]
	s_wait_loadcnt 0x0
	v_lshl_add_u32 v0, v0, 4, v255
	ds_store_b128 v23, v[16:19] offset:7488
	ds_store_b128 v0, v[150:153] offset:8736
	;; [unrolled: 1-line block ×8, first 2 shown]
	global_wb scope:SCOPE_SE
	s_wait_dscnt 0x0
	s_barrier_signal -1
	s_barrier_wait -1
	global_inv scope:SCOPE_SE
	global_load_b128 v[1:4], v[144:145], off offset:12480
	ds_load_b128 v[5:8], v23
	ds_load_b128 v[9:12], v23 offset:1248
	ds_load_b128 v[17:20], v23 offset:6240
	;; [unrolled: 1-line block ×3, first 2 shown]
	global_load_b128 v[24:27], v21, s[8:9] offset:7488
	s_wait_loadcnt_dscnt 0x103
	v_mul_f64_e32 v[13:14], v[7:8], v[3:4]
	v_mul_f64_e32 v[15:16], v[5:6], v[3:4]
	s_delay_alu instid0(VALU_DEP_2) | instskip(NEXT) | instid1(VALU_DEP_2)
	v_fma_f64 v[3:4], v[5:6], v[1:2], -v[13:14]
	v_fma_f64 v[5:6], v[7:8], v[1:2], v[15:16]
	s_clause 0x2
	global_load_b128 v[13:16], v21, s[8:9] offset:6240
	global_load_b128 v[148:151], v21, s[8:9] offset:1248
	;; [unrolled: 1-line block ×3, first 2 shown]
	s_wait_loadcnt_dscnt 0x201
	v_mul_f64_e32 v[1:2], v[19:20], v[15:16]
	v_mul_f64_e32 v[7:8], v[17:18], v[15:16]
	s_delay_alu instid0(VALU_DEP_2) | instskip(NEXT) | instid1(VALU_DEP_2)
	v_fma_f64 v[15:16], v[17:18], v[13:14], -v[1:2]
	v_fma_f64 v[17:18], v[19:20], v[13:14], v[7:8]
	s_wait_loadcnt 0x1
	v_mul_f64_e32 v[1:2], v[11:12], v[150:151]
	v_mul_f64_e32 v[13:14], v[9:10], v[150:151]
	s_delay_alu instid0(VALU_DEP_2) | instskip(NEXT) | instid1(VALU_DEP_2)
	v_fma_f64 v[7:8], v[9:10], v[148:149], -v[1:2]
	v_fma_f64 v[9:10], v[11:12], v[148:149], v[13:14]
	ds_load_b128 v[11:14], v23 offset:7488
	ds_load_b128 v[148:151], v23 offset:8736
	s_wait_dscnt 0x1
	v_mul_f64_e32 v[1:2], v[13:14], v[26:27]
	v_mul_f64_e32 v[19:20], v[11:12], v[26:27]
	s_delay_alu instid0(VALU_DEP_2) | instskip(NEXT) | instid1(VALU_DEP_2)
	v_fma_f64 v[11:12], v[11:12], v[24:25], -v[1:2]
	v_fma_f64 v[13:14], v[13:14], v[24:25], v[19:20]
	ds_load_b128 v[24:27], v23 offset:2496
	ds_load_b128 v[156:159], v23 offset:3744
	s_wait_loadcnt_dscnt 0x1
	v_mul_f64_e32 v[1:2], v[26:27], v[154:155]
	v_mul_f64_e32 v[19:20], v[24:25], v[154:155]
	s_delay_alu instid0(VALU_DEP_2) | instskip(NEXT) | instid1(VALU_DEP_2)
	v_fma_f64 v[24:25], v[24:25], v[152:153], -v[1:2]
	v_fma_f64 v[26:27], v[26:27], v[152:153], v[19:20]
	s_clause 0x1
	global_load_b128 v[152:155], v21, s[8:9] offset:8736
	global_load_b128 v[160:163], v21, s[8:9] offset:9984
	s_wait_loadcnt 0x1
	v_mul_f64_e32 v[1:2], v[150:151], v[154:155]
	v_mul_f64_e32 v[19:20], v[148:149], v[154:155]
	s_delay_alu instid0(VALU_DEP_2) | instskip(NEXT) | instid1(VALU_DEP_2)
	v_fma_f64 v[148:149], v[148:149], v[152:153], -v[1:2]
	v_fma_f64 v[150:151], v[150:151], v[152:153], v[19:20]
	s_clause 0x1
	global_load_b128 v[152:155], v21, s[8:9] offset:3744
	global_load_b128 v[164:167], v21, s[8:9] offset:4992
	ds_load_b128 v[168:171], v23 offset:9984
	ds_load_b128 v[172:175], v23 offset:11232
	s_wait_loadcnt_dscnt 0x102
	v_mul_f64_e32 v[1:2], v[158:159], v[154:155]
	v_mul_f64_e32 v[19:20], v[156:157], v[154:155]
	s_delay_alu instid0(VALU_DEP_2) | instskip(NEXT) | instid1(VALU_DEP_2)
	v_fma_f64 v[154:155], v[156:157], v[152:153], -v[1:2]
	v_fma_f64 v[156:157], v[158:159], v[152:153], v[19:20]
	s_wait_dscnt 0x1
	v_mul_f64_e32 v[1:2], v[170:171], v[162:163]
	v_mul_f64_e32 v[19:20], v[168:169], v[162:163]
	s_delay_alu instid0(VALU_DEP_2) | instskip(NEXT) | instid1(VALU_DEP_2)
	v_fma_f64 v[158:159], v[168:169], v[160:161], -v[1:2]
	v_fma_f64 v[160:161], v[170:171], v[160:161], v[19:20]
	s_wait_loadcnt 0x0
	v_mul_f64_e32 v[1:2], v[146:147], v[166:167]
	v_mul_f64_e32 v[19:20], v[144:145], v[166:167]
	s_delay_alu instid0(VALU_DEP_2) | instskip(NEXT) | instid1(VALU_DEP_2)
	v_fma_f64 v[144:145], v[144:145], v[164:165], -v[1:2]
	v_fma_f64 v[146:147], v[146:147], v[164:165], v[19:20]
	global_load_b128 v[162:165], v21, s[8:9] offset:11232
	s_wait_loadcnt_dscnt 0x0
	v_mul_f64_e32 v[1:2], v[174:175], v[164:165]
	v_mul_f64_e32 v[19:20], v[172:173], v[164:165]
	s_delay_alu instid0(VALU_DEP_2) | instskip(NEXT) | instid1(VALU_DEP_2)
	v_fma_f64 v[164:165], v[172:173], v[162:163], -v[1:2]
	v_fma_f64 v[166:167], v[174:175], v[162:163], v[19:20]
	ds_store_b128 v23, v[3:6]
	ds_store_b128 v23, v[7:10] offset:1248
	ds_store_b128 v23, v[11:14] offset:7488
	;; [unrolled: 1-line block ×9, first 2 shown]
	global_wb scope:SCOPE_SE
	s_wait_dscnt 0x0
	s_barrier_signal -1
	s_barrier_wait -1
	global_inv scope:SCOPE_SE
	ds_load_b128 v[1:4], v23 offset:6240
	ds_load_b128 v[5:8], v23
	ds_load_b128 v[9:12], v23 offset:1248
	ds_load_b128 v[13:16], v23 offset:4992
	;; [unrolled: 1-line block ×8, first 2 shown]
	global_wb scope:SCOPE_SE
	s_wait_dscnt 0x0
	s_barrier_signal -1
	s_barrier_wait -1
	global_inv scope:SCOPE_SE
	v_add_f64_e64 v[1:2], v[5:6], -v[1:2]
	v_add_f64_e64 v[3:4], v[7:8], -v[3:4]
	s_delay_alu instid0(VALU_DEP_2) | instskip(NEXT) | instid1(VALU_DEP_2)
	v_fma_f64 v[5:6], v[5:6], 2.0, -v[1:2]
	v_fma_f64 v[7:8], v[7:8], 2.0, -v[3:4]
	ds_store_b128 v225, v[1:4] offset:16
	ds_store_b128 v225, v[5:8]
	v_add_f64_e64 v[1:2], v[9:10], -v[17:18]
	v_add_f64_e64 v[3:4], v[11:12], -v[19:20]
	s_delay_alu instid0(VALU_DEP_2) | instskip(NEXT) | instid1(VALU_DEP_2)
	v_fma_f64 v[5:6], v[9:10], 2.0, -v[1:2]
	v_fma_f64 v[7:8], v[11:12], 2.0, -v[3:4]
	ds_store_b128 v193, v[1:4] offset:16
	ds_store_b128 v193, v[5:8]
	;; [unrolled: 7-line block ×3, first 2 shown]
	v_add_f64_e64 v[1:2], v[148:149], -v[152:153]
	v_add_f64_e64 v[3:4], v[150:151], -v[154:155]
	;; [unrolled: 1-line block ×4, first 2 shown]
	s_delay_alu instid0(VALU_DEP_4) | instskip(NEXT) | instid1(VALU_DEP_4)
	v_fma_f64 v[5:6], v[148:149], 2.0, -v[1:2]
	v_fma_f64 v[7:8], v[150:151], 2.0, -v[3:4]
	ds_store_b128 v176, v[1:4] offset:16
	ds_store_b128 v176, v[5:8]
	scratch_load_b32 v5, off, off offset:180 th:TH_LOAD_LU ; 4-byte Folded Reload
	v_fma_f64 v[1:2], v[13:14], 2.0, -v[144:145]
	v_fma_f64 v[3:4], v[15:16], 2.0, -v[146:147]
	s_wait_loadcnt 0x0
	ds_store_b128 v5, v[1:4]
	ds_store_b128 v5, v[144:147] offset:16
	global_wb scope:SCOPE_SE
	s_wait_dscnt 0x0
	s_barrier_signal -1
	s_barrier_wait -1
	global_inv scope:SCOPE_SE
	ds_load_b128 v[152:155], v23
	ds_load_b128 v[148:151], v23 offset:1248
	ds_load_b128 v[172:175], v23 offset:8320
	;; [unrolled: 1-line block ×8, first 2 shown]
	s_and_saveexec_b32 s1, vcc_lo
	s_cbranch_execz .LBB0_11
; %bb.10:
	ds_load_b128 v[144:147], v23 offset:3744
	ds_load_b128 v[140:143], v23 offset:7904
	;; [unrolled: 1-line block ×3, first 2 shown]
.LBB0_11:
	s_wait_alu 0xfffe
	s_or_b32 exec_lo, exec_lo, s1
	s_wait_dscnt 0x4
	v_mul_f64_e32 v[1:2], v[50:51], v[182:183]
	v_mul_f64_e32 v[3:4], v[46:47], v[174:175]
	;; [unrolled: 1-line block ×4, first 2 shown]
	s_wait_dscnt 0x2
	v_mul_f64_e32 v[9:10], v[50:51], v[178:179]
	v_mul_f64_e32 v[11:12], v[46:47], v[162:163]
	s_wait_dscnt 0x1
	v_mul_f64_e32 v[17:18], v[50:51], v[166:167]
	s_wait_dscnt 0x0
	v_mul_f64_e32 v[19:20], v[46:47], v[170:171]
	v_mul_f64_e32 v[24:25], v[50:51], v[164:165]
	;; [unrolled: 1-line block ×9, first 2 shown]
	s_mov_b32 s8, 0xe8584caa
	s_mov_b32 s9, 0xbfebb67a
	;; [unrolled: 1-line block ×3, first 2 shown]
	s_wait_alu 0xfffe
	s_mov_b32 s10, s8
	global_wb scope:SCOPE_SE
	s_barrier_signal -1
	s_barrier_wait -1
	global_inv scope:SCOPE_SE
	v_fma_f64 v[1:2], v[48:49], v[180:181], v[1:2]
	v_fma_f64 v[3:4], v[44:45], v[172:173], v[3:4]
	v_fma_f64 v[5:6], v[48:49], v[182:183], -v[5:6]
	v_fma_f64 v[7:8], v[44:45], v[174:175], -v[7:8]
	v_fma_f64 v[9:10], v[48:49], v[176:177], v[9:10]
	v_fma_f64 v[11:12], v[44:45], v[160:161], v[11:12]
	;; [unrolled: 1-line block ×4, first 2 shown]
	v_fma_f64 v[24:25], v[48:49], v[166:167], -v[24:25]
	v_fma_f64 v[26:27], v[44:45], v[170:171], -v[26:27]
	;; [unrolled: 1-line block ×4, first 2 shown]
	v_fma_f64 v[28:29], v[48:49], v[140:141], v[28:29]
	v_fma_f64 v[30:31], v[44:45], v[136:137], v[30:31]
	v_fma_f64 v[32:33], v[48:49], v[142:143], -v[32:33]
	v_fma_f64 v[34:35], v[44:45], v[138:139], -v[34:35]
	v_add_f64_e32 v[140:141], v[152:153], v[1:2]
	v_add_f64_e32 v[36:37], v[1:2], v[3:4]
	v_add_f64_e64 v[1:2], v[1:2], -v[3:4]
	v_add_f64_e32 v[38:39], v[5:6], v[7:8]
	v_add_f64_e64 v[142:143], v[5:6], -v[7:8]
	v_add_f64_e32 v[44:45], v[9:10], v[11:12]
	v_add_f64_e32 v[160:161], v[148:149], v[9:10]
	;; [unrolled: 1-line block ×13, first 2 shown]
	v_add_f64_e64 v[13:14], v[13:14], -v[15:16]
	v_add_f64_e64 v[9:10], v[9:10], -v[11:12]
	;; [unrolled: 1-line block ×6, first 2 shown]
	v_fma_f64 v[36:37], v[36:37], -0.5, v[152:153]
	v_fma_f64 v[38:39], v[38:39], -0.5, v[154:155]
	;; [unrolled: 1-line block ×3, first 2 shown]
	v_add_f64_e32 v[44:45], v[140:141], v[3:4]
	v_fma_f64 v[172:173], v[48:49], -0.5, v[156:157]
	v_fma_f64 v[174:175], v[50:51], -0.5, v[158:159]
	;; [unrolled: 1-line block ×3, first 2 shown]
	v_add_f64_e32 v[46:47], v[5:6], v[7:8]
	v_fma_f64 v[176:177], v[136:137], -0.5, v[144:145]
	v_add_f64_e32 v[136:137], v[160:161], v[11:12]
	v_fma_f64 v[178:179], v[138:139], -0.5, v[146:147]
	v_add_f64_e32 v[138:139], v[162:163], v[15:16]
	v_add_f64_e32 v[152:153], v[164:165], v[19:20]
	;; [unrolled: 1-line block ×5, first 2 shown]
	v_fma_f64 v[140:141], v[142:143], s[8:9], v[36:37]
	s_wait_alu 0xfffe
	v_fma_f64 v[48:49], v[142:143], s[10:11], v[36:37]
	v_fma_f64 v[142:143], v[1:2], s[10:11], v[38:39]
	;; [unrolled: 1-line block ×3, first 2 shown]
	scratch_load_b32 v1, off, off offset:172 th:TH_LOAD_LU ; 4-byte Folded Reload
	v_fma_f64 v[144:145], v[13:14], s[8:9], v[148:149]
	v_fma_f64 v[148:149], v[13:14], s[10:11], v[148:149]
	;; [unrolled: 1-line block ×12, first 2 shown]
	s_wait_loadcnt 0x0
	ds_store_b128 v1, v[44:47]
	ds_store_b128 v1, v[140:143] offset:32
	ds_store_b128 v1, v[48:51] offset:64
	scratch_load_b32 v1, off, off offset:168 th:TH_LOAD_LU ; 4-byte Folded Reload
	s_wait_loadcnt 0x0
	ds_store_b128 v1, v[136:139]
	ds_store_b128 v1, v[144:147] offset:32
	ds_store_b128 v1, v[148:151] offset:64
	ds_store_b128 v194, v[152:155]
	ds_store_b128 v194, v[168:171] offset:32
	ds_store_b128 v194, v[160:163] offset:64
	s_and_saveexec_b32 s1, vcc_lo
	s_cbranch_execz .LBB0_13
; %bb.12:
	scratch_load_b32 v1, off, off offset:184 th:TH_LOAD_LU ; 4-byte Folded Reload
	s_wait_loadcnt 0x0
	v_mul_u32_u24_e32 v1, 6, v1
	s_delay_alu instid0(VALU_DEP_1) | instskip(NEXT) | instid1(VALU_DEP_1)
	v_or_b32_e32 v1, v1, v190
	v_lshl_add_u32 v1, v1, 4, v189
	ds_store_b128 v1, v[156:159]
	ds_store_b128 v1, v[164:167] offset:32
	ds_store_b128 v1, v[172:175] offset:64
.LBB0_13:
	s_wait_alu 0xfffe
	s_or_b32 exec_lo, exec_lo, s1
	global_wb scope:SCOPE_SE
	s_wait_dscnt 0x0
	s_barrier_signal -1
	s_barrier_wait -1
	global_inv scope:SCOPE_SE
	s_and_saveexec_b32 s1, s0
	s_cbranch_execz .LBB0_15
; %bb.14:
	ds_load_b128 v[44:47], v23
	ds_load_b128 v[140:143], v23 offset:960
	ds_load_b128 v[48:51], v23 offset:1920
	;; [unrolled: 1-line block ×12, first 2 shown]
.LBB0_15:
	s_wait_alu 0xfffe
	s_or_b32 exec_lo, exec_lo, s1
	v_add_nc_u32_e32 v18, 0x9c0, v0
	v_add_nc_u32_e32 v17, 0xea0, v0
	;; [unrolled: 1-line block ×3, first 2 shown]
	global_wb scope:SCOPE_SE
	s_wait_dscnt 0x0
	s_barrier_signal -1
	s_barrier_wait -1
	global_inv scope:SCOPE_SE
	s_and_saveexec_b32 s33, s0
	s_cbranch_execz .LBB0_17
; %bb.16:
	v_mul_f64_e32 v[0:1], v[90:91], v[154:155]
	v_mul_f64_e32 v[2:3], v[42:43], v[140:141]
	;; [unrolled: 1-line block ×3, first 2 shown]
	s_mov_b32 s35, 0x3fddbe06
	s_mov_b32 s34, 0x4267c47c
	;; [unrolled: 1-line block ×14, first 2 shown]
	s_wait_alu 0xfffe
	s_mov_b32 s30, s26
	s_mov_b32 s28, s24
	;; [unrolled: 1-line block ×14, first 2 shown]
	v_mov_b32_e32 v21, v189
	s_mov_b32 s37, 0x3fe5384d
	s_mov_b32 s36, s16
	s_delay_alu instid0(VALU_DEP_4) | instskip(SKIP_2) | instid1(VALU_DEP_2)
	v_fma_f64 v[176:177], v[88:89], v[152:153], v[0:1]
	v_mul_f64_e32 v[0:1], v[90:91], v[152:153]
	v_fma_f64 v[2:3], v[40:41], v[142:143], -v[2:3]
	v_fma_f64 v[90:91], v[88:89], v[154:155], -v[0:1]
	v_mul_f64_e32 v[0:1], v[106:107], v[170:171]
	s_delay_alu instid0(VALU_DEP_1) | instskip(SKIP_1) | instid1(VALU_DEP_2)
	v_fma_f64 v[88:89], v[104:105], v[168:169], v[0:1]
	v_mul_f64_e32 v[0:1], v[106:107], v[168:169]
	v_add_f64_e64 v[6:7], v[176:177], -v[88:89]
	s_delay_alu instid0(VALU_DEP_2) | instskip(SKIP_2) | instid1(VALU_DEP_4)
	v_fma_f64 v[104:105], v[104:105], v[170:171], -v[0:1]
	v_mul_f64_e32 v[0:1], v[82:83], v[150:151]
	v_add_f64_e32 v[213:214], v[176:177], v[88:89]
	v_mul_f64_e32 v[12:13], s[34:35], v[6:7]
	s_delay_alu instid0(VALU_DEP_4) | instskip(NEXT) | instid1(VALU_DEP_4)
	v_add_f64_e32 v[209:210], v[90:91], v[104:105]
	v_fma_f64 v[106:107], v[80:81], v[148:149], v[0:1]
	v_mul_f64_e32 v[0:1], v[82:83], v[148:149]
	v_mul_f64_e32 v[211:212], s[24:25], v[6:7]
	v_mul_f64_e32 v[237:238], s[16:17], v[6:7]
	s_delay_alu instid0(VALU_DEP_3) | instskip(SKIP_1) | instid1(VALU_DEP_1)
	v_fma_f64 v[80:81], v[80:81], v[150:151], -v[0:1]
	v_mul_f64_e32 v[0:1], v[42:43], v[142:143]
	v_fma_f64 v[0:1], v[40:41], v[140:141], v[0:1]
	v_fma_f64 v[40:41], v[84:85], v[160:161], v[4:5]
	v_mul_f64_e32 v[4:5], v[86:87], v[160:161]
	s_delay_alu instid0(VALU_DEP_3) | instskip(NEXT) | instid1(VALU_DEP_3)
	v_add_f64_e32 v[185:186], v[44:45], v[0:1]
	v_add_f64_e32 v[205:206], v[106:107], v[40:41]
	s_delay_alu instid0(VALU_DEP_3) | instskip(SKIP_1) | instid1(VALU_DEP_2)
	v_fma_f64 v[42:43], v[84:85], v[162:163], -v[4:5]
	v_mul_f64_e32 v[4:5], v[74:75], v[146:147]
	v_add_f64_e32 v[203:204], v[80:81], v[42:43]
	s_delay_alu instid0(VALU_DEP_2) | instskip(SKIP_1) | instid1(VALU_DEP_1)
	v_fma_f64 v[82:83], v[72:73], v[144:145], v[4:5]
	v_mul_f64_e32 v[4:5], v[74:75], v[144:145]
	v_fma_f64 v[84:85], v[72:73], v[146:147], -v[4:5]
	v_mul_f64_e32 v[4:5], v[78:79], v[158:159]
	s_delay_alu instid0(VALU_DEP_1) | instskip(SKIP_1) | instid1(VALU_DEP_2)
	v_fma_f64 v[72:73], v[76:77], v[156:157], v[4:5]
	v_mul_f64_e32 v[4:5], v[78:79], v[156:157]
	v_add_f64_e32 v[201:202], v[82:83], v[72:73]
	s_delay_alu instid0(VALU_DEP_2) | instskip(SKIP_1) | instid1(VALU_DEP_2)
	v_fma_f64 v[74:75], v[76:77], v[158:159], -v[4:5]
	v_mul_f64_e32 v[4:5], v[66:67], v[138:139]
	v_add_f64_e32 v[199:200], v[84:85], v[74:75]
	s_delay_alu instid0(VALU_DEP_2) | instskip(SKIP_1) | instid1(VALU_DEP_1)
	v_fma_f64 v[76:77], v[64:65], v[136:137], v[4:5]
	v_mul_f64_e32 v[4:5], v[66:67], v[136:137]
	v_fma_f64 v[78:79], v[64:65], v[138:139], -v[4:5]
	v_mul_f64_e32 v[4:5], v[70:71], v[166:167]
	s_delay_alu instid0(VALU_DEP_1) | instskip(SKIP_2) | instid1(VALU_DEP_3)
	v_fma_f64 v[64:65], v[68:69], v[164:165], v[4:5]
	v_mul_f64_e32 v[4:5], v[70:71], v[164:165]
	v_add_f64_e64 v[70:71], v[82:83], -v[72:73]
	v_add_f64_e64 v[8:9], v[76:77], -v[64:65]
	s_delay_alu instid0(VALU_DEP_3)
	v_fma_f64 v[66:67], v[68:69], v[166:167], -v[4:5]
	v_mul_f64_e32 v[4:5], v[58:59], v[50:51]
	v_add_f64_e32 v[197:198], v[76:77], v[64:65]
	s_wait_alu 0xfffe
	v_mul_f64_e32 v[219:220], s[36:37], v[70:71]
	v_mul_f64_e32 v[138:139], s[34:35], v[8:9]
	v_add_f64_e64 v[86:87], v[78:79], -v[66:67]
	v_fma_f64 v[68:69], v[56:57], v[48:49], v[4:5]
	v_mul_f64_e32 v[4:5], v[58:59], v[48:49]
	v_add_f64_e32 v[195:196], v[78:79], v[66:67]
	s_delay_alu instid0(VALU_DEP_4) | instskip(SKIP_1) | instid1(VALU_DEP_4)
	v_mul_f64_e32 v[140:141], s[34:35], v[86:87]
	v_mul_f64_e32 v[217:218], s[18:19], v[86:87]
	v_fma_f64 v[58:59], v[56:57], v[50:51], -v[4:5]
	v_mul_f64_e32 v[4:5], v[62:63], v[174:175]
	s_delay_alu instid0(VALU_DEP_1) | instskip(SKIP_2) | instid1(VALU_DEP_3)
	v_fma_f64 v[48:49], v[60:61], v[172:173], v[4:5]
	v_mul_f64_e32 v[4:5], v[62:63], v[172:173]
	v_add_f64_e64 v[62:63], v[84:85], -v[74:75]
	v_add_f64_e32 v[193:194], v[68:69], v[48:49]
	s_delay_alu instid0(VALU_DEP_3)
	v_fma_f64 v[56:57], v[60:61], v[174:175], -v[4:5]
	v_mul_f64_e32 v[4:5], v[54:55], v[118:119]
	v_add_f64_e64 v[60:61], v[90:91], -v[104:105]
	v_mul_f64_e32 v[136:137], s[34:35], v[62:63]
	v_mul_f64_e32 v[221:222], s[36:37], v[62:63]
	v_add_f64_e64 v[10:11], v[58:59], -v[56:57]
	v_fma_f64 v[50:51], v[52:53], v[116:117], v[4:5]
	v_mul_f64_e32 v[4:5], v[54:55], v[116:117]
	v_add_f64_e64 v[116:117], v[68:69], -v[48:49]
	v_add_f64_e64 v[54:55], v[106:107], -v[40:41]
	v_mul_f64_e32 v[14:15], s[34:35], v[60:61]
	v_add_f64_e32 v[191:192], v[58:59], v[56:57]
	v_mul_f64_e32 v[215:216], s[24:25], v[60:61]
	v_mul_f64_e32 v[24:25], s[34:35], v[10:11]
	v_add_f64_e64 v[26:27], v[0:1], -v[50:51]
	v_fma_f64 v[52:53], v[52:53], v[118:119], -v[4:5]
	v_add_f64_e64 v[4:5], v[80:81], -v[42:43]
	v_mul_f64_e32 v[19:20], s[34:35], v[116:117]
	v_mul_f64_e32 v[28:29], s[34:35], v[54:55]
	;; [unrolled: 1-line block ×3, first 2 shown]
	v_add_f64_e32 v[168:169], v[0:1], v[50:51]
	v_mul_f64_e32 v[223:224], s[24:25], v[54:55]
	v_mul_f64_e32 v[227:228], s[18:19], v[116:117]
	;; [unrolled: 1-line block ×7, first 2 shown]
	s_mov_b32 s35, 0xbfddbe06
	v_mul_f64_e32 v[36:37], s[20:21], v[26:27]
	v_mul_f64_e32 v[38:39], s[28:29], v[26:27]
	;; [unrolled: 1-line block ×3, first 2 shown]
	s_wait_alu 0xfffe
	v_mul_f64_e32 v[26:27], s[34:35], v[26:27]
	v_add_f64_e32 v[144:145], v[2:3], v[52:53]
	v_mul_f64_e32 v[225:226], s[24:25], v[4:5]
	v_mul_f64_e32 v[235:236], s[30:31], v[4:5]
	s_delay_alu instid0(VALU_DEP_3)
	v_fma_f64 v[146:147], v[144:145], s[14:15], v[32:33]
	v_fma_f64 v[32:33], v[144:145], s[14:15], -v[32:33]
	v_fma_f64 v[148:149], v[144:145], s[8:9], v[34:35]
	v_fma_f64 v[34:35], v[144:145], s[8:9], -v[34:35]
	;; [unrolled: 2-line block ×6, first 2 shown]
	v_add_f64_e64 v[144:145], v[2:3], -v[52:53]
	v_add_f64_e32 v[0:1], v[46:47], v[146:147]
	v_add_f64_e32 v[32:33], v[46:47], v[32:33]
	;; [unrolled: 1-line block ×8, first 2 shown]
	v_mul_f64_e32 v[158:159], s[18:19], v[144:145]
	v_mul_f64_e32 v[160:161], s[16:17], v[144:145]
	;; [unrolled: 1-line block ×6, first 2 shown]
	v_fma_f64 v[26:27], v[191:192], s[22:23], v[19:20]
	v_fma_f64 v[19:20], v[191:192], s[22:23], -v[19:20]
	s_mov_b32 s35, 0x3fcea1e5
	s_mov_b32 s34, s18
	v_fma_f64 v[170:171], v[168:169], s[14:15], -v[158:159]
	v_fma_f64 v[158:159], v[168:169], s[14:15], v[158:159]
	v_fma_f64 v[172:173], v[168:169], s[8:9], -v[160:161]
	v_fma_f64 v[160:161], v[168:169], s[8:9], v[160:161]
	v_fma_f64 v[174:175], v[168:169], s[0:1], -v[162:163]
	v_fma_f64 v[162:163], v[168:169], s[0:1], v[162:163]
	v_fma_f64 v[178:179], v[168:169], s[10:11], -v[164:165]
	v_fma_f64 v[164:165], v[168:169], s[10:11], v[164:165]
	v_fma_f64 v[180:181], v[168:169], s[12:13], -v[166:167]
	v_fma_f64 v[166:167], v[168:169], s[12:13], v[166:167]
	v_fma_f64 v[182:183], v[168:169], s[22:23], v[144:145]
	v_fma_f64 v[144:145], v[168:169], s[22:23], -v[144:145]
	v_add_f64_e32 v[168:169], v[46:47], v[2:3]
	v_add_f64_e32 v[0:1], v[26:27], v[0:1]
	v_fma_f64 v[26:27], v[193:194], s[22:23], -v[24:25]
	v_add_f64_e32 v[19:20], v[19:20], v[32:33]
	v_fma_f64 v[24:25], v[193:194], s[22:23], v[24:25]
	v_fma_f64 v[32:33], v[213:214], s[10:11], v[215:216]
	v_add_f64_e32 v[2:3], v[44:45], v[170:171]
	v_add_f64_e32 v[146:147], v[44:45], v[158:159]
	;; [unrolled: 1-line block ×17, first 2 shown]
	v_mul_f64_e32 v[26:27], s[16:17], v[8:9]
	v_add_f64_e32 v[24:25], v[24:25], v[146:147]
	v_mul_f64_e32 v[146:147], s[30:31], v[86:87]
	s_delay_alu instid0(VALU_DEP_3) | instskip(SKIP_1) | instid1(VALU_DEP_2)
	v_fma_f64 v[44:45], v[195:196], s[8:9], v[26:27]
	v_fma_f64 v[26:27], v[195:196], s[8:9], -v[26:27]
	v_add_f64_e32 v[0:1], v[44:45], v[0:1]
	v_mul_f64_e32 v[44:45], s[16:17], v[86:87]
	s_delay_alu instid0(VALU_DEP_3) | instskip(NEXT) | instid1(VALU_DEP_2)
	v_add_f64_e32 v[19:20], v[26:27], v[19:20]
	v_fma_f64 v[46:47], v[197:198], s[8:9], -v[44:45]
	v_fma_f64 v[26:27], v[197:198], s[8:9], v[44:45]
	s_delay_alu instid0(VALU_DEP_2) | instskip(SKIP_1) | instid1(VALU_DEP_3)
	v_add_f64_e32 v[2:3], v[46:47], v[2:3]
	v_mul_f64_e32 v[46:47], s[26:27], v[70:71]
	v_add_f64_e32 v[24:25], v[26:27], v[24:25]
	s_delay_alu instid0(VALU_DEP_2) | instskip(SKIP_1) | instid1(VALU_DEP_2)
	v_fma_f64 v[142:143], v[199:200], s[12:13], v[46:47]
	v_fma_f64 v[26:27], v[199:200], s[12:13], -v[46:47]
	v_add_f64_e32 v[0:1], v[142:143], v[0:1]
	v_mul_f64_e32 v[142:143], s[26:27], v[62:63]
	s_delay_alu instid0(VALU_DEP_3) | instskip(NEXT) | instid1(VALU_DEP_2)
	v_add_f64_e32 v[19:20], v[26:27], v[19:20]
	v_fma_f64 v[144:145], v[201:202], s[12:13], -v[142:143]
	v_fma_f64 v[26:27], v[201:202], s[12:13], v[142:143]
	v_mul_f64_e32 v[142:143], s[24:25], v[10:11]
	s_delay_alu instid0(VALU_DEP_3) | instskip(SKIP_1) | instid1(VALU_DEP_4)
	v_add_f64_e32 v[2:3], v[144:145], v[2:3]
	v_mul_f64_e32 v[144:145], s[20:21], v[54:55]
	v_add_f64_e32 v[24:25], v[26:27], v[24:25]
	s_delay_alu instid0(VALU_DEP_4) | instskip(NEXT) | instid1(VALU_DEP_3)
	v_fma_f64 v[44:45], v[193:194], s[10:11], -v[142:143]
	v_fma_f64 v[156:157], v[203:204], s[0:1], v[144:145]
	v_fma_f64 v[26:27], v[203:204], s[0:1], -v[144:145]
	v_mul_f64_e32 v[144:145], s[30:31], v[8:9]
	s_delay_alu instid0(VALU_DEP_4)
	v_add_f64_e32 v[44:45], v[44:45], v[158:159]
	v_mul_f64_e32 v[158:159], s[20:21], v[6:7]
	v_add_f64_e32 v[0:1], v[156:157], v[0:1]
	v_mul_f64_e32 v[156:157], s[20:21], v[4:5]
	v_add_f64_e32 v[19:20], v[26:27], v[19:20]
	v_fma_f64 v[46:47], v[195:196], s[12:13], v[144:145]
	s_delay_alu instid0(VALU_DEP_3) | instskip(SKIP_3) | instid1(VALU_DEP_3)
	v_fma_f64 v[26:27], v[205:206], s[0:1], v[156:157]
	v_fma_f64 v[207:208], v[205:206], s[0:1], -v[156:157]
	s_wait_alu 0xfffe
	v_mul_f64_e32 v[156:157], s[34:35], v[62:63]
	v_add_f64_e32 v[24:25], v[26:27], v[24:25]
	v_fma_f64 v[26:27], v[209:210], s[10:11], -v[211:212]
	s_delay_alu instid0(VALU_DEP_4)
	v_add_f64_e32 v[207:208], v[207:208], v[2:3]
	v_fma_f64 v[2:3], v[209:210], s[10:11], v[211:212]
	v_mul_f64_e32 v[211:212], s[20:21], v[10:11]
	v_add_f64_e32 v[24:25], v[32:33], v[24:25]
	v_add_f64_e32 v[26:27], v[26:27], v[19:20]
	v_mul_f64_e32 v[19:20], s[24:25], v[116:117]
	v_add_f64_e32 v[2:3], v[2:3], v[0:1]
	v_fma_f64 v[0:1], v[213:214], s[10:11], -v[215:216]
	v_mul_f64_e32 v[215:216], s[18:19], v[8:9]
	s_mov_b32 s25, 0x3fedeba7
	s_mov_b32 s24, s20
	s_wait_alu 0xfffe
	v_mul_f64_e32 v[231:232], s[24:25], v[86:87]
	v_fma_f64 v[32:33], v[191:192], s[10:11], v[19:20]
	v_fma_f64 v[19:20], v[191:192], s[10:11], -v[19:20]
	v_add_f64_e32 v[0:1], v[0:1], v[207:208]
	s_delay_alu instid0(VALU_DEP_3) | instskip(SKIP_1) | instid1(VALU_DEP_4)
	v_add_f64_e32 v[32:33], v[32:33], v[148:149]
	v_mul_f64_e32 v[148:149], s[34:35], v[70:71]
	v_add_f64_e32 v[19:20], v[19:20], v[34:35]
	v_fma_f64 v[34:35], v[193:194], s[10:11], v[142:143]
	v_fma_f64 v[142:143], v[195:196], s[12:13], -v[144:145]
	v_add_f64_e32 v[32:33], v[46:47], v[32:33]
	v_fma_f64 v[46:47], v[197:198], s[12:13], -v[146:147]
	s_delay_alu instid0(VALU_DEP_4) | instskip(NEXT) | instid1(VALU_DEP_4)
	v_add_f64_e32 v[34:35], v[34:35], v[160:161]
	v_add_f64_e32 v[19:20], v[142:143], v[19:20]
	v_fma_f64 v[142:143], v[197:198], s[12:13], v[146:147]
	v_mul_f64_e32 v[160:161], s[34:35], v[54:55]
	v_add_f64_e32 v[44:45], v[46:47], v[44:45]
	v_fma_f64 v[46:47], v[199:200], s[14:15], v[148:149]
	s_delay_alu instid0(VALU_DEP_4) | instskip(SKIP_1) | instid1(VALU_DEP_3)
	v_add_f64_e32 v[34:35], v[142:143], v[34:35]
	v_fma_f64 v[142:143], v[199:200], s[14:15], -v[148:149]
	v_add_f64_e32 v[32:33], v[46:47], v[32:33]
	v_fma_f64 v[46:47], v[201:202], s[14:15], -v[156:157]
	s_delay_alu instid0(VALU_DEP_3) | instskip(SKIP_1) | instid1(VALU_DEP_3)
	v_add_f64_e32 v[19:20], v[142:143], v[19:20]
	v_fma_f64 v[142:143], v[201:202], s[14:15], v[156:157]
	v_add_f64_e32 v[44:45], v[46:47], v[44:45]
	v_fma_f64 v[46:47], v[203:204], s[22:23], v[28:29]
	v_fma_f64 v[28:29], v[203:204], s[22:23], -v[28:29]
	s_delay_alu instid0(VALU_DEP_4) | instskip(NEXT) | instid1(VALU_DEP_3)
	v_add_f64_e32 v[34:35], v[142:143], v[34:35]
	v_add_f64_e32 v[32:33], v[46:47], v[32:33]
	v_fma_f64 v[46:47], v[205:206], s[22:23], -v[30:31]
	s_delay_alu instid0(VALU_DEP_4) | instskip(SKIP_2) | instid1(VALU_DEP_4)
	v_add_f64_e32 v[19:20], v[28:29], v[19:20]
	v_fma_f64 v[28:29], v[205:206], s[22:23], v[30:31]
	v_fma_f64 v[30:31], v[209:210], s[0:1], -v[158:159]
	v_add_f64_e32 v[44:45], v[46:47], v[44:45]
	v_fma_f64 v[46:47], v[209:210], s[0:1], v[158:159]
	s_delay_alu instid0(VALU_DEP_4) | instskip(NEXT) | instid1(VALU_DEP_4)
	v_add_f64_e32 v[28:29], v[28:29], v[34:35]
	v_add_f64_e32 v[144:145], v[30:31], v[19:20]
	v_mul_f64_e32 v[19:20], s[36:37], v[116:117]
	v_mul_f64_e32 v[30:31], s[36:37], v[10:11]
	v_fma_f64 v[34:35], v[195:196], s[22:23], v[138:139]
	v_mul_f64_e32 v[158:159], s[28:29], v[62:63]
	v_add_f64_e32 v[46:47], v[46:47], v[32:33]
	v_mul_f64_e32 v[32:33], s[20:21], v[60:61]
	s_delay_alu instid0(VALU_DEP_1) | instskip(SKIP_1) | instid1(VALU_DEP_2)
	v_fma_f64 v[207:208], v[213:214], s[0:1], -v[32:33]
	v_fma_f64 v[32:33], v[213:214], s[0:1], v[32:33]
	v_add_f64_e32 v[44:45], v[207:208], v[44:45]
	s_delay_alu instid0(VALU_DEP_2)
	v_add_f64_e32 v[142:143], v[32:33], v[28:29]
	v_fma_f64 v[28:29], v[191:192], s[8:9], v[19:20]
	v_fma_f64 v[32:33], v[193:194], s[8:9], -v[30:31]
	v_mul_f64_e32 v[207:208], s[26:27], v[6:7]
	v_fma_f64 v[19:20], v[191:192], s[8:9], -v[19:20]
	v_fma_f64 v[30:31], v[193:194], s[8:9], v[30:31]
	v_add_f64_e32 v[28:29], v[28:29], v[150:151]
	v_add_f64_e32 v[32:33], v[32:33], v[170:171]
	v_mul_f64_e32 v[170:171], s[34:35], v[4:5]
	v_add_f64_e32 v[19:20], v[19:20], v[36:37]
	v_fma_f64 v[36:37], v[195:196], s[22:23], -v[138:139]
	v_add_f64_e32 v[30:31], v[30:31], v[162:163]
	v_add_f64_e32 v[28:29], v[34:35], v[28:29]
	v_fma_f64 v[34:35], v[197:198], s[22:23], -v[140:141]
	s_delay_alu instid0(VALU_DEP_4) | instskip(SKIP_1) | instid1(VALU_DEP_3)
	v_add_f64_e32 v[19:20], v[36:37], v[19:20]
	v_fma_f64 v[36:37], v[197:198], s[22:23], v[140:141]
	v_add_f64_e32 v[32:33], v[34:35], v[32:33]
	v_mul_f64_e32 v[34:35], s[28:29], v[70:71]
	s_delay_alu instid0(VALU_DEP_3) | instskip(NEXT) | instid1(VALU_DEP_2)
	v_add_f64_e32 v[30:31], v[36:37], v[30:31]
	v_fma_f64 v[146:147], v[199:200], s[10:11], v[34:35]
	v_fma_f64 v[34:35], v[199:200], s[10:11], -v[34:35]
	s_delay_alu instid0(VALU_DEP_2) | instskip(SKIP_1) | instid1(VALU_DEP_3)
	v_add_f64_e32 v[28:29], v[146:147], v[28:29]
	v_fma_f64 v[146:147], v[201:202], s[10:11], -v[158:159]
	v_add_f64_e32 v[19:20], v[34:35], v[19:20]
	v_fma_f64 v[34:35], v[201:202], s[10:11], v[158:159]
	s_delay_alu instid0(VALU_DEP_3) | instskip(SKIP_1) | instid1(VALU_DEP_3)
	v_add_f64_e32 v[32:33], v[146:147], v[32:33]
	v_fma_f64 v[146:147], v[203:204], s[14:15], v[160:161]
	v_add_f64_e32 v[30:31], v[34:35], v[30:31]
	v_fma_f64 v[34:35], v[203:204], s[14:15], -v[160:161]
	s_delay_alu instid0(VALU_DEP_3) | instskip(SKIP_1) | instid1(VALU_DEP_3)
	v_add_f64_e32 v[28:29], v[146:147], v[28:29]
	v_fma_f64 v[146:147], v[205:206], s[14:15], -v[170:171]
	v_add_f64_e32 v[19:20], v[34:35], v[19:20]
	v_fma_f64 v[34:35], v[205:206], s[14:15], v[170:171]
	s_delay_alu instid0(VALU_DEP_3) | instskip(SKIP_1) | instid1(VALU_DEP_3)
	v_add_f64_e32 v[32:33], v[146:147], v[32:33]
	v_fma_f64 v[146:147], v[209:210], s[12:13], v[207:208]
	v_add_f64_e32 v[30:31], v[34:35], v[30:31]
	v_fma_f64 v[34:35], v[209:210], s[12:13], -v[207:208]
	s_delay_alu instid0(VALU_DEP_3) | instskip(SKIP_1) | instid1(VALU_DEP_3)
	v_add_f64_e32 v[148:149], v[146:147], v[28:29]
	v_mul_f64_e32 v[28:29], s[26:27], v[60:61]
	v_add_f64_e32 v[140:141], v[34:35], v[19:20]
	v_fma_f64 v[19:20], v[191:192], s[14:15], v[227:228]
	s_delay_alu instid0(VALU_DEP_3) | instskip(SKIP_1) | instid1(VALU_DEP_3)
	v_fma_f64 v[146:147], v[213:214], s[12:13], -v[28:29]
	v_fma_f64 v[28:29], v[213:214], s[12:13], v[28:29]
	v_add_f64_e32 v[19:20], v[19:20], v[172:173]
	s_delay_alu instid0(VALU_DEP_3) | instskip(SKIP_1) | instid1(VALU_DEP_4)
	v_add_f64_e32 v[146:147], v[146:147], v[32:33]
	v_mul_f64_e32 v[32:33], s[20:21], v[116:117]
	v_add_f64_e32 v[138:139], v[28:29], v[30:31]
	v_fma_f64 v[28:29], v[193:194], s[14:15], -v[229:230]
	s_delay_alu instid0(VALU_DEP_3) | instskip(NEXT) | instid1(VALU_DEP_2)
	v_fma_f64 v[150:151], v[191:192], s[0:1], -v[32:33]
	v_add_f64_e32 v[28:29], v[28:29], v[174:175]
	s_delay_alu instid0(VALU_DEP_2) | instskip(SKIP_1) | instid1(VALU_DEP_1)
	v_add_f64_e32 v[150:151], v[150:151], v[152:153]
	v_fma_f64 v[152:153], v[193:194], s[0:1], v[211:212]
	v_add_f64_e32 v[152:153], v[152:153], v[154:155]
	v_fma_f64 v[154:155], v[195:196], s[14:15], -v[215:216]
	s_delay_alu instid0(VALU_DEP_1) | instskip(SKIP_1) | instid1(VALU_DEP_1)
	v_add_f64_e32 v[150:151], v[154:155], v[150:151]
	v_fma_f64 v[154:155], v[197:198], s[14:15], v[217:218]
	v_add_f64_e32 v[152:153], v[154:155], v[152:153]
	v_fma_f64 v[154:155], v[199:200], s[8:9], -v[219:220]
	s_delay_alu instid0(VALU_DEP_1) | instskip(SKIP_1) | instid1(VALU_DEP_1)
	;; [unrolled: 5-line block ×3, first 2 shown]
	v_add_f64_e32 v[150:151], v[154:155], v[150:151]
	v_fma_f64 v[154:155], v[205:206], s[10:11], v[225:226]
	v_add_f64_e32 v[154:155], v[154:155], v[152:153]
	v_fma_f64 v[152:153], v[209:210], s[22:23], -v[12:13]
	v_fma_f64 v[12:13], v[209:210], s[22:23], v[12:13]
	s_delay_alu instid0(VALU_DEP_2) | instskip(SKIP_1) | instid1(VALU_DEP_1)
	v_add_f64_e32 v[152:153], v[152:153], v[150:151]
	v_fma_f64 v[150:151], v[213:214], s[22:23], v[14:15]
	v_add_f64_e32 v[150:151], v[150:151], v[154:155]
	v_fma_f64 v[154:155], v[191:192], s[14:15], -v[227:228]
	s_delay_alu instid0(VALU_DEP_1) | instskip(SKIP_1) | instid1(VALU_DEP_1)
	v_add_f64_e32 v[38:39], v[154:155], v[38:39]
	v_fma_f64 v[154:155], v[193:194], s[14:15], v[229:230]
	v_add_f64_e32 v[154:155], v[154:155], v[164:165]
	v_mul_f64_e32 v[164:165], s[24:25], v[8:9]
	s_delay_alu instid0(VALU_DEP_1) | instskip(SKIP_1) | instid1(VALU_DEP_2)
	v_fma_f64 v[156:157], v[195:196], s[0:1], -v[164:165]
	v_fma_f64 v[30:31], v[195:196], s[0:1], v[164:165]
	v_add_f64_e32 v[38:39], v[156:157], v[38:39]
	v_fma_f64 v[156:157], v[197:198], s[0:1], v[231:232]
	s_delay_alu instid0(VALU_DEP_3) | instskip(SKIP_1) | instid1(VALU_DEP_3)
	v_add_f64_e32 v[19:20], v[30:31], v[19:20]
	v_fma_f64 v[30:31], v[197:198], s[0:1], -v[231:232]
	v_add_f64_e32 v[154:155], v[156:157], v[154:155]
	v_fma_f64 v[156:157], v[199:200], s[22:23], -v[118:119]
	s_delay_alu instid0(VALU_DEP_3) | instskip(SKIP_1) | instid1(VALU_DEP_3)
	v_add_f64_e32 v[28:29], v[30:31], v[28:29]
	v_fma_f64 v[30:31], v[199:200], s[22:23], v[118:119]
	v_add_f64_e32 v[38:39], v[156:157], v[38:39]
	v_fma_f64 v[156:157], v[201:202], s[22:23], v[136:137]
	s_delay_alu instid0(VALU_DEP_3) | instskip(SKIP_1) | instid1(VALU_DEP_3)
	v_add_f64_e32 v[19:20], v[30:31], v[19:20]
	v_fma_f64 v[30:31], v[201:202], s[22:23], -v[136:137]
	v_add_f64_e32 v[154:155], v[156:157], v[154:155]
	v_fma_f64 v[156:157], v[203:204], s[12:13], -v[233:234]
	s_delay_alu instid0(VALU_DEP_3) | instskip(SKIP_1) | instid1(VALU_DEP_3)
	v_add_f64_e32 v[28:29], v[30:31], v[28:29]
	;; [unrolled: 10-line block ×3, first 2 shown]
	v_fma_f64 v[30:31], v[209:210], s[8:9], v[237:238]
	v_add_f64_e32 v[156:157], v[156:157], v[38:39]
	v_mul_f64_e32 v[38:39], s[16:17], v[60:61]
	s_delay_alu instid0(VALU_DEP_3)
	v_add_f64_e32 v[160:161], v[30:31], v[19:20]
	v_fma_f64 v[19:20], v[191:192], s[0:1], v[32:33]
	v_fma_f64 v[30:31], v[195:196], s[14:15], v[215:216]
	v_mul_f64_e32 v[32:33], s[28:29], v[8:9]
	v_mul_f64_e32 v[60:61], s[18:19], v[60:61]
	v_fma_f64 v[34:35], v[213:214], s[8:9], -v[38:39]
	v_fma_f64 v[239:240], v[213:214], s[8:9], v[38:39]
	v_add_f64_e32 v[19:20], v[19:20], v[178:179]
	v_fma_f64 v[8:9], v[195:196], s[10:11], -v[32:33]
	v_fma_f64 v[32:33], v[195:196], s[10:11], v[32:33]
	v_add_f64_e32 v[158:159], v[34:35], v[28:29]
	v_fma_f64 v[28:29], v[193:194], s[0:1], -v[211:212]
	v_add_f64_e32 v[19:20], v[30:31], v[19:20]
	v_fma_f64 v[30:31], v[197:198], s[14:15], -v[217:218]
	v_add_f64_e32 v[154:155], v[239:240], v[154:155]
	s_delay_alu instid0(VALU_DEP_4) | instskip(NEXT) | instid1(VALU_DEP_1)
	v_add_f64_e32 v[28:29], v[28:29], v[180:181]
	v_add_f64_e32 v[28:29], v[30:31], v[28:29]
	v_fma_f64 v[30:31], v[199:200], s[8:9], v[219:220]
	s_delay_alu instid0(VALU_DEP_1) | instskip(SKIP_1) | instid1(VALU_DEP_1)
	v_add_f64_e32 v[19:20], v[30:31], v[19:20]
	v_fma_f64 v[30:31], v[201:202], s[8:9], -v[221:222]
	v_add_f64_e32 v[28:29], v[30:31], v[28:29]
	v_fma_f64 v[30:31], v[203:204], s[10:11], v[223:224]
	s_delay_alu instid0(VALU_DEP_1) | instskip(SKIP_1) | instid1(VALU_DEP_1)
	v_add_f64_e32 v[19:20], v[30:31], v[19:20]
	v_fma_f64 v[30:31], v[205:206], s[10:11], -v[225:226]
	v_add_f64_e32 v[28:29], v[30:31], v[28:29]
	v_fma_f64 v[30:31], v[213:214], s[22:23], -v[14:15]
	s_delay_alu instid0(VALU_DEP_4) | instskip(SKIP_1) | instid1(VALU_DEP_3)
	v_add_f64_e32 v[14:15], v[12:13], v[19:20]
	v_mul_f64_e32 v[19:20], s[30:31], v[116:117]
	v_add_f64_e32 v[12:13], v[30:31], v[28:29]
	v_mul_f64_e32 v[30:31], s[30:31], v[10:11]
	s_delay_alu instid0(VALU_DEP_3) | instskip(SKIP_1) | instid1(VALU_DEP_3)
	v_fma_f64 v[28:29], v[191:192], s[12:13], -v[19:20]
	v_fma_f64 v[19:20], v[191:192], s[12:13], v[19:20]
	v_fma_f64 v[10:11], v[193:194], s[12:13], v[30:31]
	s_delay_alu instid0(VALU_DEP_3) | instskip(SKIP_1) | instid1(VALU_DEP_4)
	v_add_f64_e32 v[28:29], v[28:29], v[187:188]
	v_fma_f64 v[30:31], v[193:194], s[12:13], -v[30:31]
	v_add_f64_e32 v[19:20], v[19:20], v[166:167]
	s_delay_alu instid0(VALU_DEP_4) | instskip(NEXT) | instid1(VALU_DEP_4)
	v_add_f64_e32 v[10:11], v[10:11], v[182:183]
	v_add_f64_e32 v[8:9], v[8:9], v[28:29]
	v_mul_f64_e32 v[28:29], s[28:29], v[86:87]
	v_add_f64_e32 v[30:31], v[30:31], v[189:190]
	v_add_f64_e32 v[19:20], v[32:33], v[19:20]
	s_delay_alu instid0(VALU_DEP_3) | instskip(SKIP_1) | instid1(VALU_DEP_2)
	v_fma_f64 v[34:35], v[197:198], s[10:11], v[28:29]
	v_fma_f64 v[28:29], v[197:198], s[10:11], -v[28:29]
	v_add_f64_e32 v[10:11], v[34:35], v[10:11]
	v_mul_f64_e32 v[34:35], s[20:21], v[70:71]
	s_delay_alu instid0(VALU_DEP_3) | instskip(NEXT) | instid1(VALU_DEP_2)
	v_add_f64_e32 v[28:29], v[28:29], v[30:31]
	v_fma_f64 v[36:37], v[199:200], s[0:1], -v[34:35]
	v_fma_f64 v[34:35], v[199:200], s[0:1], v[34:35]
	s_delay_alu instid0(VALU_DEP_2) | instskip(SKIP_2) | instid1(VALU_DEP_4)
	v_add_f64_e32 v[8:9], v[36:37], v[8:9]
	v_mul_f64_e32 v[36:37], s[20:21], v[62:63]
	v_mul_f64_e32 v[62:63], s[18:19], v[6:7]
	v_add_f64_e32 v[19:20], v[34:35], v[19:20]
	s_delay_alu instid0(VALU_DEP_3) | instskip(NEXT) | instid1(VALU_DEP_3)
	v_fma_f64 v[38:39], v[201:202], s[0:1], v[36:37]
	v_fma_f64 v[6:7], v[209:210], s[14:15], -v[62:63]
	v_fma_f64 v[34:35], v[209:210], s[14:15], v[62:63]
	v_fma_f64 v[36:37], v[201:202], s[0:1], -v[36:37]
	s_delay_alu instid0(VALU_DEP_4) | instskip(SKIP_1) | instid1(VALU_DEP_3)
	v_add_f64_e32 v[10:11], v[38:39], v[10:11]
	v_mul_f64_e32 v[38:39], s[16:17], v[54:55]
	v_add_f64_e32 v[28:29], v[36:37], v[28:29]
	v_fma_f64 v[36:37], v[213:214], s[14:15], -v[60:61]
	s_delay_alu instid0(VALU_DEP_3) | instskip(SKIP_1) | instid1(VALU_DEP_2)
	v_fma_f64 v[54:55], v[203:204], s[8:9], -v[38:39]
	v_fma_f64 v[30:31], v[203:204], s[8:9], v[38:39]
	v_add_f64_e32 v[8:9], v[54:55], v[8:9]
	v_mul_f64_e32 v[54:55], s[16:17], v[4:5]
	s_delay_alu instid0(VALU_DEP_3) | instskip(NEXT) | instid1(VALU_DEP_3)
	v_add_f64_e32 v[19:20], v[30:31], v[19:20]
	v_add_f64_e32 v[6:7], v[6:7], v[8:9]
	s_delay_alu instid0(VALU_DEP_3) | instskip(SKIP_2) | instid1(VALU_DEP_3)
	v_fma_f64 v[4:5], v[205:206], s[8:9], v[54:55]
	v_fma_f64 v[8:9], v[213:214], s[14:15], v[60:61]
	v_fma_f64 v[32:33], v[205:206], s[8:9], -v[54:55]
	v_add_f64_e32 v[4:5], v[4:5], v[10:11]
	v_add_f64_e32 v[10:11], v[185:186], v[68:69]
	s_delay_alu instid0(VALU_DEP_3) | instskip(NEXT) | instid1(VALU_DEP_3)
	v_add_f64_e32 v[28:29], v[32:33], v[28:29]
	v_add_f64_e32 v[4:5], v[8:9], v[4:5]
	;; [unrolled: 1-line block ×3, first 2 shown]
	s_delay_alu instid0(VALU_DEP_4) | instskip(NEXT) | instid1(VALU_DEP_2)
	v_add_f64_e32 v[10:11], v[10:11], v[76:77]
	v_add_f64_e32 v[8:9], v[8:9], v[78:79]
	s_delay_alu instid0(VALU_DEP_2) | instskip(NEXT) | instid1(VALU_DEP_2)
	v_add_f64_e32 v[10:11], v[10:11], v[82:83]
	v_add_f64_e32 v[8:9], v[8:9], v[84:85]
	s_delay_alu instid0(VALU_DEP_2) | instskip(NEXT) | instid1(VALU_DEP_2)
	;; [unrolled: 3-line block ×5, first 2 shown]
	v_add_f64_e32 v[10:11], v[10:11], v[40:41]
	v_add_f64_e32 v[8:9], v[8:9], v[42:43]
	;; [unrolled: 1-line block ×3, first 2 shown]
	s_clause 0x1
	scratch_load_b32 v19, off, off offset:164 th:TH_LOAD_LU
	scratch_load_b32 v20, off, off offset:160 th:TH_LOAD_LU
	v_add_f64_e32 v[10:11], v[10:11], v[72:73]
	v_add_f64_e32 v[8:9], v[8:9], v[74:75]
	s_delay_alu instid0(VALU_DEP_2) | instskip(NEXT) | instid1(VALU_DEP_2)
	v_add_f64_e32 v[10:11], v[10:11], v[64:65]
	v_add_f64_e32 v[8:9], v[8:9], v[66:67]
	s_delay_alu instid0(VALU_DEP_2) | instskip(NEXT) | instid1(VALU_DEP_2)
	v_add_f64_e32 v[40:41], v[10:11], v[48:49]
	v_add_f64_e32 v[8:9], v[8:9], v[56:57]
	s_delay_alu instid0(VALU_DEP_1) | instskip(NEXT) | instid1(VALU_DEP_3)
	v_add_f64_e32 v[10:11], v[8:9], v[52:53]
	v_add_f64_e32 v[8:9], v[40:41], v[50:51]
	;; [unrolled: 1-line block ×3, first 2 shown]
	s_wait_loadcnt 0x1
	v_mul_u32_u24_e32 v19, 0x4e, v19
	s_wait_loadcnt 0x0
	s_delay_alu instid0(VALU_DEP_1) | instskip(NEXT) | instid1(VALU_DEP_1)
	v_add_nc_u32_e32 v19, v19, v20
	v_lshl_add_u32 v19, v19, 4, v21
	ds_store_b128 v19, v[150:153] offset:192
	ds_store_b128 v19, v[154:157] offset:288
	;; [unrolled: 1-line block ×11, first 2 shown]
	ds_store_b128 v19, v[8:11]
	ds_store_b128 v19, v[40:43] offset:1152
.LBB0_17:
	s_or_b32 exec_lo, exec_lo, s33
	global_wb scope:SCOPE_SE
	s_wait_dscnt 0x0
	s_barrier_signal -1
	s_barrier_wait -1
	global_inv scope:SCOPE_SE
	ds_load_b128 v[0:3], v23 offset:2496
	ds_load_b128 v[4:7], v23 offset:4992
	;; [unrolled: 1-line block ×8, first 2 shown]
	s_mov_b32 s0, 0x134454ff
	s_mov_b32 s1, 0xbfee6f0e
	;; [unrolled: 1-line block ×3, first 2 shown]
	s_wait_alu 0xfffe
	s_mov_b32 s8, s0
	s_wait_dscnt 0x7
	v_mul_f64_e32 v[32:33], v[94:95], v[0:1]
	s_wait_dscnt 0x6
	v_mul_f64_e32 v[28:29], v[98:99], v[6:7]
	;; [unrolled: 2-line block ×3, first 2 shown]
	v_mul_f64_e32 v[36:37], v[98:99], v[4:5]
	v_mul_f64_e32 v[38:39], v[102:103], v[8:9]
	;; [unrolled: 1-line block ×3, first 2 shown]
	s_wait_dscnt 0x4
	v_mul_f64_e32 v[34:35], v[110:111], v[14:15]
	v_mul_f64_e32 v[52:53], v[110:111], v[12:13]
	s_wait_dscnt 0x2
	v_mul_f64_e32 v[56:57], v[98:99], v[42:43]
	s_wait_dscnt 0x1
	v_mul_f64_e32 v[58:59], v[102:103], v[46:47]
	v_mul_f64_e32 v[60:61], v[98:99], v[40:41]
	v_mul_f64_e32 v[64:65], v[102:103], v[44:45]
	v_mul_f64_e32 v[54:55], v[94:95], v[26:27]
	s_wait_dscnt 0x0
	v_mul_f64_e32 v[62:63], v[110:111], v[50:51]
	v_mul_f64_e32 v[66:67], v[94:95], v[24:25]
	;; [unrolled: 1-line block ×3, first 2 shown]
	v_fma_f64 v[28:29], v[96:97], v[4:5], v[28:29]
	v_fma_f64 v[8:9], v[100:101], v[8:9], v[30:31]
	v_fma_f64 v[30:31], v[92:93], v[2:3], -v[32:33]
	v_fma_f64 v[32:33], v[96:97], v[6:7], -v[36:37]
	;; [unrolled: 1-line block ×3, first 2 shown]
	v_fma_f64 v[19:20], v[92:93], v[0:1], v[19:20]
	v_fma_f64 v[12:13], v[108:109], v[12:13], v[34:35]
	v_fma_f64 v[14:15], v[108:109], v[14:15], -v[52:53]
	v_fma_f64 v[34:35], v[96:97], v[40:41], v[56:57]
	v_fma_f64 v[36:37], v[100:101], v[44:45], v[58:59]
	v_fma_f64 v[38:39], v[96:97], v[42:43], -v[60:61]
	v_fma_f64 v[42:43], v[100:101], v[46:47], -v[64:65]
	v_fma_f64 v[24:25], v[92:93], v[24:25], v[54:55]
	v_fma_f64 v[40:41], v[108:109], v[48:49], v[62:63]
	v_fma_f64 v[26:27], v[92:93], v[26:27], -v[66:67]
	v_fma_f64 v[44:45], v[108:109], v[50:51], -v[68:69]
	ds_load_b128 v[0:3], v23
	ds_load_b128 v[4:7], v23 offset:1248
	global_wb scope:SCOPE_SE
	s_wait_dscnt 0x0
	s_barrier_signal -1
	s_barrier_wait -1
	global_inv scope:SCOPE_SE
	v_add_f64_e32 v[46:47], v[28:29], v[8:9]
	v_add_f64_e32 v[68:69], v[2:3], v[30:31]
	v_add_f64_e64 v[84:85], v[30:31], -v[32:33]
	v_add_f64_e32 v[50:51], v[32:33], v[10:11]
	v_add_f64_e32 v[62:63], v[0:1], v[19:20]
	;; [unrolled: 1-line block ×4, first 2 shown]
	v_add_f64_e64 v[64:65], v[30:31], -v[14:15]
	v_add_f64_e32 v[54:55], v[34:35], v[36:37]
	v_add_f64_e64 v[74:75], v[19:20], -v[12:13]
	v_add_f64_e32 v[58:59], v[38:39], v[42:43]
	v_add_f64_e32 v[70:71], v[4:5], v[24:25]
	;; [unrolled: 1-line block ×5, first 2 shown]
	v_add_f64_e64 v[66:67], v[32:33], -v[10:11]
	v_add_f64_e64 v[76:77], v[26:27], -v[44:45]
	;; [unrolled: 1-line block ×16, first 2 shown]
	v_fma_f64 v[46:47], v[46:47], -0.5, v[0:1]
	v_add_f64_e32 v[32:33], v[68:69], v[32:33]
	v_fma_f64 v[50:51], v[50:51], -0.5, v[2:3]
	v_fma_f64 v[0:1], v[48:49], -0.5, v[0:1]
	v_add_f64_e64 v[48:49], v[28:29], -v[8:9]
	v_fma_f64 v[2:3], v[52:53], -0.5, v[2:3]
	v_fma_f64 v[54:55], v[54:55], -0.5, v[4:5]
	v_add_f64_e64 v[52:53], v[38:39], -v[42:43]
	;; [unrolled: 3-line block ×3, first 2 shown]
	v_fma_f64 v[6:7], v[60:61], -0.5, v[6:7]
	v_add_f64_e64 v[60:61], v[19:20], -v[28:29]
	v_add_f64_e64 v[19:20], v[28:29], -v[19:20]
	v_add_f64_e32 v[28:29], v[62:63], v[28:29]
	v_add_f64_e32 v[34:35], v[70:71], v[34:35]
	;; [unrolled: 1-line block ×5, first 2 shown]
	v_fma_f64 v[62:63], v[64:65], s[0:1], v[46:47]
	s_wait_alu 0xfffe
	v_fma_f64 v[46:47], v[64:65], s[8:9], v[46:47]
	v_add_f64_e32 v[10:11], v[32:33], v[10:11]
	v_fma_f64 v[70:71], v[74:75], s[8:9], v[50:51]
	v_fma_f64 v[50:51], v[74:75], s[0:1], v[50:51]
	;; [unrolled: 1-line block ×14, first 2 shown]
	s_mov_b32 s0, 0x4755a5e
	s_mov_b32 s1, 0xbfe2cf23
	;; [unrolled: 1-line block ×3, first 2 shown]
	s_wait_alu 0xfffe
	s_mov_b32 s8, s0
	v_add_f64_e32 v[8:9], v[28:29], v[8:9]
	v_add_f64_e32 v[60:61], v[60:61], v[80:81]
	;; [unrolled: 1-line block ×9, first 2 shown]
	v_fma_f64 v[28:29], v[66:67], s[0:1], v[62:63]
	s_wait_alu 0xfffe
	v_fma_f64 v[32:33], v[66:67], s[8:9], v[46:47]
	v_fma_f64 v[38:39], v[48:49], s[8:9], v[70:71]
	;; [unrolled: 1-line block ×15, first 2 shown]
	s_mov_b32 s0, 0x372fe950
	s_mov_b32 s1, 0x3fd3c6ef
	v_add_f64_e32 v[2:3], v[10:11], v[14:15]
	v_add_f64_e32 v[0:1], v[8:9], v[12:13]
	;; [unrolled: 1-line block ×4, first 2 shown]
	s_wait_alu 0xfffe
	v_fma_f64 v[8:9], v[60:61], s[0:1], v[28:29]
	v_fma_f64 v[12:13], v[60:61], s[0:1], v[32:33]
	;; [unrolled: 1-line block ×16, first 2 shown]
	s_mul_u64 s[0:1], s[4:5], 0x1860
	ds_store_b128 v23, v[0:3]
	ds_store_b128 v23, v[8:11] offset:1248
	ds_store_b128 v23, v[24:27] offset:2496
	;; [unrolled: 1-line block ×9, first 2 shown]
	global_wb scope:SCOPE_SE
	s_wait_dscnt 0x0
	s_barrier_signal -1
	s_barrier_wait -1
	global_inv scope:SCOPE_SE
	ds_load_b128 v[0:3], v23 offset:6240
	ds_load_b128 v[4:7], v23 offset:7488
	;; [unrolled: 1-line block ×6, first 2 shown]
	s_wait_dscnt 0x5
	v_mul_f64_e32 v[19:20], v[114:115], v[2:3]
	v_mul_f64_e32 v[28:29], v[114:115], v[0:1]
	s_wait_dscnt 0x4
	v_mul_f64_e32 v[30:31], v[122:123], v[6:7]
	v_mul_f64_e32 v[32:33], v[122:123], v[4:5]
	;; [unrolled: 3-line block ×5, first 2 shown]
	v_fma_f64 v[19:20], v[112:113], v[0:1], v[19:20]
	v_fma_f64 v[28:29], v[112:113], v[2:3], -v[28:29]
	v_fma_f64 v[30:31], v[120:121], v[4:5], v[30:31]
	v_fma_f64 v[32:33], v[120:121], v[6:7], -v[32:33]
	;; [unrolled: 2-line block ×5, first 2 shown]
	ds_load_b128 v[0:3], v23
	ds_load_b128 v[4:7], v23 offset:1248
	ds_load_b128 v[8:11], v23 offset:2496
	ds_load_b128 v[12:15], v23 offset:3744
	s_wait_dscnt 0x3
	v_add_f64_e64 v[24:25], v[0:1], -v[19:20]
	v_add_f64_e64 v[26:27], v[2:3], -v[28:29]
	s_wait_dscnt 0x2
	v_add_f64_e64 v[44:45], v[4:5], -v[30:31]
	v_add_f64_e64 v[46:47], v[6:7], -v[32:33]
	;; [unrolled: 3-line block ×4, first 2 shown]
	v_add_f64_e64 v[56:57], v[40:41], -v[56:57]
	v_add_f64_e64 v[58:59], v[42:43], -v[58:59]
	v_mad_co_u64_u32 v[20:21], null, s6, v184, 0
	v_mad_co_u64_u32 v[28:29], null, s4, v22, 0
	s_delay_alu instid0(VALU_DEP_2) | instskip(NEXT) | instid1(VALU_DEP_1)
	v_mad_co_u64_u32 v[30:31], null, s7, v184, v[21:22]
	v_mov_b32_e32 v21, v30
	s_delay_alu instid0(VALU_DEP_1) | instskip(NEXT) | instid1(VALU_DEP_1)
	v_lshlrev_b64_e32 v[20:21], 4, v[20:21]
	v_add_co_u32 v88, vcc_lo, s2, v20
	v_fma_f64 v[0:1], v[0:1], 2.0, -v[24:25]
	v_fma_f64 v[2:3], v[2:3], 2.0, -v[26:27]
	;; [unrolled: 1-line block ×10, first 2 shown]
	s_wait_alu 0xfffd
	v_add_co_ci_u32_e32 v89, vcc_lo, s3, v21, vcc_lo
	s_movk_i32 s2, 0xec80
	s_mov_b32 s3, -1
	ds_store_b128 v23, v[44:47] offset:7488
	ds_store_b128 v18, v[48:51] offset:6240
	;; [unrolled: 1-line block ×4, first 2 shown]
	ds_store_b128 v23, v[0:3]
	ds_store_b128 v23, v[4:7] offset:1248
	ds_store_b128 v23, v[8:11] offset:2496
	;; [unrolled: 1-line block ×5, first 2 shown]
	global_wb scope:SCOPE_SE
	s_wait_dscnt 0x0
	s_barrier_signal -1
	s_barrier_wait -1
	global_inv scope:SCOPE_SE
	ds_load_b128 v[0:3], v23
	ds_load_b128 v[4:7], v23 offset:6240
	ds_load_b128 v[8:11], v23 offset:1248
	;; [unrolled: 1-line block ×9, first 2 shown]
	s_clause 0x1
	scratch_load_b128 v[94:97], off, off offset:16 th:TH_LOAD_LU
	scratch_load_b128 v[90:93], off, off th:TH_LOAD_LU
	v_mad_co_u64_u32 v[22:23], null, s5, v22, v[29:30]
	s_wait_alu 0xfffe
	s_mul_u64 s[2:3], s[4:5], s[2:3]
	s_mov_b32 s4, 0x15015015
	s_mov_b32 s5, 0x3f550150
	scratch_load_b128 v[104:107], off, off offset:80 th:TH_LOAD_LU ; 16-byte Folded Reload
	v_mov_b32_e32 v29, v22
	s_delay_alu instid0(VALU_DEP_1)
	v_lshlrev_b64_e32 v[22:23], 4, v[28:29]
	s_wait_loadcnt_dscnt 0x209
	v_mul_f64_e32 v[31:32], v[96:97], v[2:3]
	v_mul_f64_e32 v[33:34], v[96:97], v[0:1]
	scratch_load_b128 v[96:99], off, off offset:32 th:TH_LOAD_LU ; 16-byte Folded Reload
	s_wait_loadcnt_dscnt 0x208
	v_mul_f64_e32 v[35:36], v[92:93], v[6:7]
	v_mul_f64_e32 v[37:38], v[92:93], v[4:5]
	s_wait_loadcnt_dscnt 0x105
	v_mul_f64_e32 v[64:65], v[106:107], v[18:19]
	v_mul_f64_e32 v[66:67], v[106:107], v[16:17]
	scratch_load_b128 v[106:109], off, off offset:96 th:TH_LOAD_LU ; 16-byte Folded Reload
	v_fma_f64 v[0:1], v[94:95], v[0:1], v[31:32]
	v_fma_f64 v[2:3], v[94:95], v[2:3], -v[33:34]
	v_fma_f64 v[4:5], v[90:91], v[4:5], v[35:36]
	v_fma_f64 v[6:7], v[90:91], v[6:7], -v[37:38]
	;; [unrolled: 2-line block ×3, first 2 shown]
	s_wait_alu 0xfffe
	v_mul_f64_e32 v[0:1], s[4:5], v[0:1]
	v_mul_f64_e32 v[2:3], s[4:5], v[2:3]
	;; [unrolled: 1-line block ×6, first 2 shown]
	s_wait_loadcnt 0x1
	v_mul_f64_e32 v[56:57], v[98:99], v[10:11]
	v_mul_f64_e32 v[58:59], v[98:99], v[8:9]
	scratch_load_b128 v[98:101], off, off offset:48 th:TH_LOAD_LU ; 16-byte Folded Reload
	s_wait_loadcnt_dscnt 0x103
	v_mul_f64_e32 v[72:73], v[108:109], v[42:43]
	v_mul_f64_e32 v[74:75], v[108:109], v[40:41]
	scratch_load_b128 v[108:111], off, off offset:112 th:TH_LOAD_LU ; 16-byte Folded Reload
	v_fma_f64 v[8:9], v[96:97], v[8:9], v[56:57]
	v_fma_f64 v[10:11], v[96:97], v[10:11], -v[58:59]
	v_fma_f64 v[28:29], v[106:107], v[42:43], -v[74:75]
	v_add_co_u32 v42, vcc_lo, v88, v22
	s_wait_alu 0xfffd
	v_add_co_ci_u32_e32 v43, vcc_lo, v89, v23, vcc_lo
	v_mul_f64_e32 v[8:9], s[4:5], v[8:9]
	v_mul_f64_e32 v[10:11], s[4:5], v[10:11]
	s_wait_loadcnt 0x1
	v_mul_f64_e32 v[60:61], v[100:101], v[14:15]
	v_mul_f64_e32 v[62:63], v[100:101], v[12:13]
	scratch_load_b128 v[100:103], off, off offset:64 th:TH_LOAD_LU ; 16-byte Folded Reload
	s_wait_loadcnt_dscnt 0x102
	v_mul_f64_e32 v[76:77], v[110:111], v[46:47]
	v_mul_f64_e32 v[78:79], v[110:111], v[44:45]
	scratch_load_b128 v[110:113], off, off offset:128 th:TH_LOAD_LU ; 16-byte Folded Reload
	v_fma_f64 v[12:13], v[98:99], v[12:13], v[60:61]
	v_fma_f64 v[14:15], v[98:99], v[14:15], -v[62:63]
	v_fma_f64 v[30:31], v[108:109], v[44:45], v[76:77]
	v_fma_f64 v[32:33], v[108:109], v[46:47], -v[78:79]
	v_add_co_u32 v44, vcc_lo, v42, s0
	s_wait_alu 0xfffd
	v_add_co_ci_u32_e32 v45, vcc_lo, s1, v43, vcc_lo
	s_delay_alu instid0(VALU_DEP_2) | instskip(SKIP_1) | instid1(VALU_DEP_2)
	v_add_co_u32 v46, vcc_lo, v44, s2
	s_wait_alu 0xfffd
	v_add_co_ci_u32_e32 v47, vcc_lo, s3, v45, vcc_lo
	v_mul_f64_e32 v[12:13], s[4:5], v[12:13]
	v_mul_f64_e32 v[14:15], s[4:5], v[14:15]
	s_wait_loadcnt 0x1
	v_mul_f64_e32 v[68:69], v[102:103], v[26:27]
	v_mul_f64_e32 v[70:71], v[102:103], v[24:25]
	s_wait_loadcnt_dscnt 0x1
	v_mul_f64_e32 v[80:81], v[112:113], v[50:51]
	v_mul_f64_e32 v[82:83], v[112:113], v[48:49]
	scratch_load_b128 v[112:115], off, off offset:144 th:TH_LOAD_LU ; 16-byte Folded Reload
	v_fma_f64 v[20:21], v[100:101], v[24:25], v[68:69]
	v_fma_f64 v[24:25], v[100:101], v[26:27], -v[70:71]
	v_fma_f64 v[26:27], v[106:107], v[40:41], v[72:73]
	v_fma_f64 v[34:35], v[110:111], v[48:49], v[80:81]
	v_fma_f64 v[36:37], v[110:111], v[50:51], -v[82:83]
	v_add_co_u32 v48, vcc_lo, v46, s0
	s_wait_alu 0xfffd
	v_add_co_ci_u32_e32 v49, vcc_lo, s1, v47, vcc_lo
	v_mul_f64_e32 v[20:21], s[4:5], v[20:21]
	v_mul_f64_e32 v[22:23], s[4:5], v[24:25]
	v_mul_f64_e32 v[24:25], s[4:5], v[26:27]
	v_mul_f64_e32 v[26:27], s[4:5], v[28:29]
	v_mul_f64_e32 v[28:29], s[4:5], v[30:31]
	v_mul_f64_e32 v[30:31], s[4:5], v[32:33]
	v_mul_f64_e32 v[32:33], s[4:5], v[34:35]
	v_mul_f64_e32 v[34:35], s[4:5], v[36:37]
	s_wait_loadcnt_dscnt 0x0
	v_mul_f64_e32 v[84:85], v[114:115], v[54:55]
	v_mul_f64_e32 v[86:87], v[114:115], v[52:53]
	s_delay_alu instid0(VALU_DEP_2) | instskip(NEXT) | instid1(VALU_DEP_2)
	v_fma_f64 v[38:39], v[112:113], v[52:53], v[84:85]
	v_fma_f64 v[40:41], v[112:113], v[54:55], -v[86:87]
	s_delay_alu instid0(VALU_DEP_2) | instskip(NEXT) | instid1(VALU_DEP_2)
	v_mul_f64_e32 v[36:37], s[4:5], v[38:39]
	v_mul_f64_e32 v[38:39], s[4:5], v[40:41]
	v_add_co_u32 v40, vcc_lo, v48, s2
	s_wait_alu 0xfffd
	v_add_co_ci_u32_e32 v41, vcc_lo, s3, v49, vcc_lo
	s_delay_alu instid0(VALU_DEP_2) | instskip(SKIP_1) | instid1(VALU_DEP_2)
	v_add_co_u32 v50, vcc_lo, v40, s0
	s_wait_alu 0xfffd
	v_add_co_ci_u32_e32 v51, vcc_lo, s1, v41, vcc_lo
	s_delay_alu instid0(VALU_DEP_2) | instskip(SKIP_1) | instid1(VALU_DEP_2)
	;; [unrolled: 4-line block ×5, first 2 shown]
	v_add_co_u32 v58, vcc_lo, v56, s0
	s_wait_alu 0xfffd
	v_add_co_ci_u32_e32 v59, vcc_lo, s1, v57, vcc_lo
	s_clause 0x4
	global_store_b128 v[42:43], v[0:3], off
	global_store_b128 v[44:45], v[4:7], off
	;; [unrolled: 1-line block ×10, first 2 shown]
.LBB0_18:
	s_nop 0
	s_sendmsg sendmsg(MSG_DEALLOC_VGPRS)
	s_endpgm
	.section	.rodata,"a",@progbits
	.p2align	6, 0x0
	.amdhsa_kernel bluestein_single_back_len780_dim1_dp_op_CI_CI
		.amdhsa_group_segment_fixed_size 37440
		.amdhsa_private_segment_fixed_size 328
		.amdhsa_kernarg_size 104
		.amdhsa_user_sgpr_count 2
		.amdhsa_user_sgpr_dispatch_ptr 0
		.amdhsa_user_sgpr_queue_ptr 0
		.amdhsa_user_sgpr_kernarg_segment_ptr 1
		.amdhsa_user_sgpr_dispatch_id 0
		.amdhsa_user_sgpr_private_segment_size 0
		.amdhsa_wavefront_size32 1
		.amdhsa_uses_dynamic_stack 0
		.amdhsa_enable_private_segment 1
		.amdhsa_system_sgpr_workgroup_id_x 1
		.amdhsa_system_sgpr_workgroup_id_y 0
		.amdhsa_system_sgpr_workgroup_id_z 0
		.amdhsa_system_sgpr_workgroup_info 0
		.amdhsa_system_vgpr_workitem_id 0
		.amdhsa_next_free_vgpr 256
		.amdhsa_next_free_sgpr 50
		.amdhsa_reserve_vcc 1
		.amdhsa_float_round_mode_32 0
		.amdhsa_float_round_mode_16_64 0
		.amdhsa_float_denorm_mode_32 3
		.amdhsa_float_denorm_mode_16_64 3
		.amdhsa_fp16_overflow 0
		.amdhsa_workgroup_processor_mode 1
		.amdhsa_memory_ordered 1
		.amdhsa_forward_progress 0
		.amdhsa_round_robin_scheduling 0
		.amdhsa_exception_fp_ieee_invalid_op 0
		.amdhsa_exception_fp_denorm_src 0
		.amdhsa_exception_fp_ieee_div_zero 0
		.amdhsa_exception_fp_ieee_overflow 0
		.amdhsa_exception_fp_ieee_underflow 0
		.amdhsa_exception_fp_ieee_inexact 0
		.amdhsa_exception_int_div_zero 0
	.end_amdhsa_kernel
	.text
.Lfunc_end0:
	.size	bluestein_single_back_len780_dim1_dp_op_CI_CI, .Lfunc_end0-bluestein_single_back_len780_dim1_dp_op_CI_CI
                                        ; -- End function
	.section	.AMDGPU.csdata,"",@progbits
; Kernel info:
; codeLenInByte = 18052
; NumSgprs: 52
; NumVgprs: 256
; ScratchSize: 328
; MemoryBound: 0
; FloatMode: 240
; IeeeMode: 1
; LDSByteSize: 37440 bytes/workgroup (compile time only)
; SGPRBlocks: 6
; VGPRBlocks: 31
; NumSGPRsForWavesPerEU: 52
; NumVGPRsForWavesPerEU: 256
; Occupancy: 5
; WaveLimiterHint : 1
; COMPUTE_PGM_RSRC2:SCRATCH_EN: 1
; COMPUTE_PGM_RSRC2:USER_SGPR: 2
; COMPUTE_PGM_RSRC2:TRAP_HANDLER: 0
; COMPUTE_PGM_RSRC2:TGID_X_EN: 1
; COMPUTE_PGM_RSRC2:TGID_Y_EN: 0
; COMPUTE_PGM_RSRC2:TGID_Z_EN: 0
; COMPUTE_PGM_RSRC2:TIDIG_COMP_CNT: 0
	.text
	.p2alignl 7, 3214868480
	.fill 96, 4, 3214868480
	.type	__hip_cuid_d687b41694851e6b,@object ; @__hip_cuid_d687b41694851e6b
	.section	.bss,"aw",@nobits
	.globl	__hip_cuid_d687b41694851e6b
__hip_cuid_d687b41694851e6b:
	.byte	0                               ; 0x0
	.size	__hip_cuid_d687b41694851e6b, 1

	.ident	"AMD clang version 19.0.0git (https://github.com/RadeonOpenCompute/llvm-project roc-6.4.0 25133 c7fe45cf4b819c5991fe208aaa96edf142730f1d)"
	.section	".note.GNU-stack","",@progbits
	.addrsig
	.addrsig_sym __hip_cuid_d687b41694851e6b
	.amdgpu_metadata
---
amdhsa.kernels:
  - .args:
      - .actual_access:  read_only
        .address_space:  global
        .offset:         0
        .size:           8
        .value_kind:     global_buffer
      - .actual_access:  read_only
        .address_space:  global
        .offset:         8
        .size:           8
        .value_kind:     global_buffer
      - .actual_access:  read_only
        .address_space:  global
        .offset:         16
        .size:           8
        .value_kind:     global_buffer
      - .actual_access:  read_only
        .address_space:  global
        .offset:         24
        .size:           8
        .value_kind:     global_buffer
      - .actual_access:  read_only
        .address_space:  global
        .offset:         32
        .size:           8
        .value_kind:     global_buffer
      - .offset:         40
        .size:           8
        .value_kind:     by_value
      - .address_space:  global
        .offset:         48
        .size:           8
        .value_kind:     global_buffer
      - .address_space:  global
        .offset:         56
        .size:           8
        .value_kind:     global_buffer
      - .address_space:  global
        .offset:         64
        .size:           8
        .value_kind:     global_buffer
      - .address_space:  global
        .offset:         72
        .size:           8
        .value_kind:     global_buffer
      - .offset:         80
        .size:           4
        .value_kind:     by_value
      - .address_space:  global
        .offset:         88
        .size:           8
        .value_kind:     global_buffer
      - .address_space:  global
        .offset:         96
        .size:           8
        .value_kind:     global_buffer
    .group_segment_fixed_size: 37440
    .kernarg_segment_align: 8
    .kernarg_segment_size: 104
    .language:       OpenCL C
    .language_version:
      - 2
      - 0
    .max_flat_workgroup_size: 234
    .name:           bluestein_single_back_len780_dim1_dp_op_CI_CI
    .private_segment_fixed_size: 328
    .sgpr_count:     52
    .sgpr_spill_count: 0
    .symbol:         bluestein_single_back_len780_dim1_dp_op_CI_CI.kd
    .uniform_work_group_size: 1
    .uses_dynamic_stack: false
    .vgpr_count:     256
    .vgpr_spill_count: 81
    .wavefront_size: 32
    .workgroup_processor_mode: 1
amdhsa.target:   amdgcn-amd-amdhsa--gfx1201
amdhsa.version:
  - 1
  - 2
...

	.end_amdgpu_metadata
